;; amdgpu-corpus repo=ROCm/rocFFT kind=compiled arch=gfx1201 opt=O3
	.text
	.amdgcn_target "amdgcn-amd-amdhsa--gfx1201"
	.amdhsa_code_object_version 6
	.protected	fft_rtc_back_len338_factors_13_2_13_wgs_52_tpt_26_halfLds_dp_ip_CI_unitstride_sbrr_dirReg ; -- Begin function fft_rtc_back_len338_factors_13_2_13_wgs_52_tpt_26_halfLds_dp_ip_CI_unitstride_sbrr_dirReg
	.globl	fft_rtc_back_len338_factors_13_2_13_wgs_52_tpt_26_halfLds_dp_ip_CI_unitstride_sbrr_dirReg
	.p2align	8
	.type	fft_rtc_back_len338_factors_13_2_13_wgs_52_tpt_26_halfLds_dp_ip_CI_unitstride_sbrr_dirReg,@function
fft_rtc_back_len338_factors_13_2_13_wgs_52_tpt_26_halfLds_dp_ip_CI_unitstride_sbrr_dirReg: ; @fft_rtc_back_len338_factors_13_2_13_wgs_52_tpt_26_halfLds_dp_ip_CI_unitstride_sbrr_dirReg
; %bb.0:
	s_clause 0x2
	s_load_b128 s[4:7], s[0:1], 0x0
	s_load_b64 s[8:9], s[0:1], 0x50
	s_load_b64 s[10:11], s[0:1], 0x18
	v_mul_u32_u24_e32 v1, 0x9d9, v0
	v_mov_b32_e32 v3, 0
	s_delay_alu instid0(VALU_DEP_2) | instskip(SKIP_2) | instid1(VALU_DEP_4)
	v_lshrrev_b32_e32 v54, 16, v1
	v_mov_b32_e32 v1, 0
	v_mov_b32_e32 v2, 0
	;; [unrolled: 1-line block ×3, first 2 shown]
	s_delay_alu instid0(VALU_DEP_4) | instskip(SKIP_2) | instid1(VALU_DEP_1)
	v_lshl_add_u32 v5, ttmp9, 1, v54
	s_wait_kmcnt 0x0
	v_cmp_lt_u64_e64 s2, s[6:7], 2
	s_and_b32 vcc_lo, exec_lo, s2
	s_cbranch_vccnz .LBB0_8
; %bb.1:
	s_load_b64 s[2:3], s[0:1], 0x10
	v_mov_b32_e32 v1, 0
	v_mov_b32_e32 v2, 0
	s_add_nc_u64 s[12:13], s[10:11], 8
	s_mov_b64 s[14:15], 1
	s_wait_kmcnt 0x0
	s_add_nc_u64 s[16:17], s[2:3], 8
	s_mov_b32 s3, 0
.LBB0_2:                                ; =>This Inner Loop Header: Depth=1
	s_load_b64 s[18:19], s[16:17], 0x0
                                        ; implicit-def: $vgpr7_vgpr8
	s_mov_b32 s2, exec_lo
	s_wait_kmcnt 0x0
	v_or_b32_e32 v4, s19, v6
	s_delay_alu instid0(VALU_DEP_1)
	v_cmpx_ne_u64_e32 0, v[3:4]
	s_wait_alu 0xfffe
	s_xor_b32 s20, exec_lo, s2
	s_cbranch_execz .LBB0_4
; %bb.3:                                ;   in Loop: Header=BB0_2 Depth=1
	s_cvt_f32_u32 s2, s18
	s_cvt_f32_u32 s21, s19
	s_sub_nc_u64 s[24:25], 0, s[18:19]
	s_wait_alu 0xfffe
	s_delay_alu instid0(SALU_CYCLE_1) | instskip(SKIP_1) | instid1(SALU_CYCLE_2)
	s_fmamk_f32 s2, s21, 0x4f800000, s2
	s_wait_alu 0xfffe
	v_s_rcp_f32 s2, s2
	s_delay_alu instid0(TRANS32_DEP_1) | instskip(SKIP_1) | instid1(SALU_CYCLE_2)
	s_mul_f32 s2, s2, 0x5f7ffffc
	s_wait_alu 0xfffe
	s_mul_f32 s21, s2, 0x2f800000
	s_wait_alu 0xfffe
	s_delay_alu instid0(SALU_CYCLE_2) | instskip(SKIP_1) | instid1(SALU_CYCLE_2)
	s_trunc_f32 s21, s21
	s_wait_alu 0xfffe
	s_fmamk_f32 s2, s21, 0xcf800000, s2
	s_cvt_u32_f32 s23, s21
	s_wait_alu 0xfffe
	s_delay_alu instid0(SALU_CYCLE_1) | instskip(SKIP_1) | instid1(SALU_CYCLE_2)
	s_cvt_u32_f32 s22, s2
	s_wait_alu 0xfffe
	s_mul_u64 s[26:27], s[24:25], s[22:23]
	s_wait_alu 0xfffe
	s_mul_hi_u32 s29, s22, s27
	s_mul_i32 s28, s22, s27
	s_mul_hi_u32 s2, s22, s26
	s_mul_i32 s30, s23, s26
	s_wait_alu 0xfffe
	s_add_nc_u64 s[28:29], s[2:3], s[28:29]
	s_mul_hi_u32 s21, s23, s26
	s_mul_hi_u32 s31, s23, s27
	s_add_co_u32 s2, s28, s30
	s_wait_alu 0xfffe
	s_add_co_ci_u32 s2, s29, s21
	s_mul_i32 s26, s23, s27
	s_add_co_ci_u32 s27, s31, 0
	s_wait_alu 0xfffe
	s_add_nc_u64 s[26:27], s[2:3], s[26:27]
	s_wait_alu 0xfffe
	v_add_co_u32 v4, s2, s22, s26
	s_delay_alu instid0(VALU_DEP_1) | instskip(SKIP_1) | instid1(VALU_DEP_1)
	s_cmp_lg_u32 s2, 0
	s_add_co_ci_u32 s23, s23, s27
	v_readfirstlane_b32 s22, v4
	s_wait_alu 0xfffe
	s_delay_alu instid0(VALU_DEP_1)
	s_mul_u64 s[24:25], s[24:25], s[22:23]
	s_wait_alu 0xfffe
	s_mul_hi_u32 s27, s22, s25
	s_mul_i32 s26, s22, s25
	s_mul_hi_u32 s2, s22, s24
	s_mul_i32 s28, s23, s24
	s_wait_alu 0xfffe
	s_add_nc_u64 s[26:27], s[2:3], s[26:27]
	s_mul_hi_u32 s21, s23, s24
	s_mul_hi_u32 s22, s23, s25
	s_wait_alu 0xfffe
	s_add_co_u32 s2, s26, s28
	s_add_co_ci_u32 s2, s27, s21
	s_mul_i32 s24, s23, s25
	s_add_co_ci_u32 s25, s22, 0
	s_wait_alu 0xfffe
	s_add_nc_u64 s[24:25], s[2:3], s[24:25]
	s_wait_alu 0xfffe
	v_add_co_u32 v4, s2, v4, s24
	s_delay_alu instid0(VALU_DEP_1) | instskip(SKIP_1) | instid1(VALU_DEP_1)
	s_cmp_lg_u32 s2, 0
	s_add_co_ci_u32 s2, s23, s25
	v_mul_hi_u32 v13, v5, v4
	s_wait_alu 0xfffe
	v_mad_co_u64_u32 v[7:8], null, v5, s2, 0
	v_mad_co_u64_u32 v[9:10], null, v6, v4, 0
	;; [unrolled: 1-line block ×3, first 2 shown]
	s_delay_alu instid0(VALU_DEP_3) | instskip(SKIP_1) | instid1(VALU_DEP_4)
	v_add_co_u32 v4, vcc_lo, v13, v7
	s_wait_alu 0xfffd
	v_add_co_ci_u32_e32 v7, vcc_lo, 0, v8, vcc_lo
	s_delay_alu instid0(VALU_DEP_2) | instskip(SKIP_1) | instid1(VALU_DEP_2)
	v_add_co_u32 v4, vcc_lo, v4, v9
	s_wait_alu 0xfffd
	v_add_co_ci_u32_e32 v4, vcc_lo, v7, v10, vcc_lo
	s_wait_alu 0xfffd
	v_add_co_ci_u32_e32 v7, vcc_lo, 0, v12, vcc_lo
	s_delay_alu instid0(VALU_DEP_2) | instskip(SKIP_1) | instid1(VALU_DEP_2)
	v_add_co_u32 v4, vcc_lo, v4, v11
	s_wait_alu 0xfffd
	v_add_co_ci_u32_e32 v9, vcc_lo, 0, v7, vcc_lo
	s_delay_alu instid0(VALU_DEP_2) | instskip(SKIP_1) | instid1(VALU_DEP_3)
	v_mul_lo_u32 v10, s19, v4
	v_mad_co_u64_u32 v[7:8], null, s18, v4, 0
	v_mul_lo_u32 v11, s18, v9
	s_delay_alu instid0(VALU_DEP_2) | instskip(NEXT) | instid1(VALU_DEP_2)
	v_sub_co_u32 v7, vcc_lo, v5, v7
	v_add3_u32 v8, v8, v11, v10
	s_delay_alu instid0(VALU_DEP_1) | instskip(SKIP_1) | instid1(VALU_DEP_1)
	v_sub_nc_u32_e32 v10, v6, v8
	s_wait_alu 0xfffd
	v_subrev_co_ci_u32_e64 v10, s2, s19, v10, vcc_lo
	v_add_co_u32 v11, s2, v4, 2
	s_wait_alu 0xf1ff
	v_add_co_ci_u32_e64 v12, s2, 0, v9, s2
	v_sub_co_u32 v13, s2, v7, s18
	v_sub_co_ci_u32_e32 v8, vcc_lo, v6, v8, vcc_lo
	s_wait_alu 0xf1ff
	v_subrev_co_ci_u32_e64 v10, s2, 0, v10, s2
	s_delay_alu instid0(VALU_DEP_3) | instskip(NEXT) | instid1(VALU_DEP_3)
	v_cmp_le_u32_e32 vcc_lo, s18, v13
	v_cmp_eq_u32_e64 s2, s19, v8
	s_wait_alu 0xfffd
	v_cndmask_b32_e64 v13, 0, -1, vcc_lo
	v_cmp_le_u32_e32 vcc_lo, s19, v10
	s_wait_alu 0xfffd
	v_cndmask_b32_e64 v14, 0, -1, vcc_lo
	v_cmp_le_u32_e32 vcc_lo, s18, v7
	;; [unrolled: 3-line block ×3, first 2 shown]
	s_wait_alu 0xfffd
	v_cndmask_b32_e64 v15, 0, -1, vcc_lo
	v_cmp_eq_u32_e32 vcc_lo, s19, v10
	s_wait_alu 0xf1ff
	s_delay_alu instid0(VALU_DEP_2)
	v_cndmask_b32_e64 v7, v15, v7, s2
	s_wait_alu 0xfffd
	v_cndmask_b32_e32 v10, v14, v13, vcc_lo
	v_add_co_u32 v13, vcc_lo, v4, 1
	s_wait_alu 0xfffd
	v_add_co_ci_u32_e32 v14, vcc_lo, 0, v9, vcc_lo
	s_delay_alu instid0(VALU_DEP_3) | instskip(SKIP_2) | instid1(VALU_DEP_3)
	v_cmp_ne_u32_e32 vcc_lo, 0, v10
	s_wait_alu 0xfffd
	v_cndmask_b32_e32 v10, v13, v11, vcc_lo
	v_cndmask_b32_e32 v8, v14, v12, vcc_lo
	v_cmp_ne_u32_e32 vcc_lo, 0, v7
	s_wait_alu 0xfffd
	s_delay_alu instid0(VALU_DEP_2)
	v_dual_cndmask_b32 v7, v4, v10 :: v_dual_cndmask_b32 v8, v9, v8
.LBB0_4:                                ;   in Loop: Header=BB0_2 Depth=1
	s_wait_alu 0xfffe
	s_and_not1_saveexec_b32 s2, s20
	s_cbranch_execz .LBB0_6
; %bb.5:                                ;   in Loop: Header=BB0_2 Depth=1
	v_cvt_f32_u32_e32 v4, s18
	s_sub_co_i32 s20, 0, s18
	s_delay_alu instid0(VALU_DEP_1) | instskip(NEXT) | instid1(TRANS32_DEP_1)
	v_rcp_iflag_f32_e32 v4, v4
	v_mul_f32_e32 v4, 0x4f7ffffe, v4
	s_delay_alu instid0(VALU_DEP_1) | instskip(SKIP_1) | instid1(VALU_DEP_1)
	v_cvt_u32_f32_e32 v4, v4
	s_wait_alu 0xfffe
	v_mul_lo_u32 v7, s20, v4
	s_delay_alu instid0(VALU_DEP_1) | instskip(NEXT) | instid1(VALU_DEP_1)
	v_mul_hi_u32 v7, v4, v7
	v_add_nc_u32_e32 v4, v4, v7
	s_delay_alu instid0(VALU_DEP_1) | instskip(NEXT) | instid1(VALU_DEP_1)
	v_mul_hi_u32 v4, v5, v4
	v_mul_lo_u32 v7, v4, s18
	v_add_nc_u32_e32 v8, 1, v4
	s_delay_alu instid0(VALU_DEP_2) | instskip(NEXT) | instid1(VALU_DEP_1)
	v_sub_nc_u32_e32 v7, v5, v7
	v_subrev_nc_u32_e32 v9, s18, v7
	v_cmp_le_u32_e32 vcc_lo, s18, v7
	s_wait_alu 0xfffd
	s_delay_alu instid0(VALU_DEP_2) | instskip(NEXT) | instid1(VALU_DEP_1)
	v_dual_cndmask_b32 v7, v7, v9 :: v_dual_cndmask_b32 v4, v4, v8
	v_cmp_le_u32_e32 vcc_lo, s18, v7
	s_delay_alu instid0(VALU_DEP_2) | instskip(SKIP_1) | instid1(VALU_DEP_1)
	v_add_nc_u32_e32 v8, 1, v4
	s_wait_alu 0xfffd
	v_dual_cndmask_b32 v7, v4, v8 :: v_dual_mov_b32 v8, v3
.LBB0_6:                                ;   in Loop: Header=BB0_2 Depth=1
	s_wait_alu 0xfffe
	s_or_b32 exec_lo, exec_lo, s2
	s_load_b64 s[20:21], s[12:13], 0x0
	s_delay_alu instid0(VALU_DEP_1)
	v_mul_lo_u32 v4, v8, s18
	v_mul_lo_u32 v11, v7, s19
	v_mad_co_u64_u32 v[9:10], null, v7, s18, 0
	s_add_nc_u64 s[14:15], s[14:15], 1
	s_add_nc_u64 s[12:13], s[12:13], 8
	s_wait_alu 0xfffe
	v_cmp_ge_u64_e64 s2, s[14:15], s[6:7]
	s_add_nc_u64 s[16:17], s[16:17], 8
	s_delay_alu instid0(VALU_DEP_2) | instskip(NEXT) | instid1(VALU_DEP_3)
	v_add3_u32 v4, v10, v11, v4
	v_sub_co_u32 v5, vcc_lo, v5, v9
	s_wait_alu 0xfffd
	s_delay_alu instid0(VALU_DEP_2) | instskip(SKIP_3) | instid1(VALU_DEP_2)
	v_sub_co_ci_u32_e32 v4, vcc_lo, v6, v4, vcc_lo
	s_and_b32 vcc_lo, exec_lo, s2
	s_wait_kmcnt 0x0
	v_mul_lo_u32 v6, s21, v5
	v_mul_lo_u32 v4, s20, v4
	v_mad_co_u64_u32 v[1:2], null, s20, v5, v[1:2]
	s_delay_alu instid0(VALU_DEP_1)
	v_add3_u32 v2, v6, v2, v4
	s_wait_alu 0xfffe
	s_cbranch_vccnz .LBB0_9
; %bb.7:                                ;   in Loop: Header=BB0_2 Depth=1
	v_dual_mov_b32 v5, v7 :: v_dual_mov_b32 v6, v8
	s_branch .LBB0_2
.LBB0_8:
	v_dual_mov_b32 v8, v6 :: v_dual_mov_b32 v7, v5
.LBB0_9:
	s_lshl_b64 s[2:3], s[6:7], 3
	v_mul_hi_u32 v5, 0x9d89d8a, v0
	s_wait_alu 0xfffe
	s_add_nc_u64 s[2:3], s[10:11], s[2:3]
	v_mov_b32_e32 v78, 0
	s_load_b64 s[2:3], s[2:3], 0x0
	s_load_b64 s[0:1], s[0:1], 0x20
	v_mov_b32_e32 v79, 0
                                        ; implicit-def: $vgpr10_vgpr11
                                        ; implicit-def: $vgpr22_vgpr23
                                        ; implicit-def: $vgpr34_vgpr35
                                        ; implicit-def: $vgpr18_vgpr19
                                        ; implicit-def: $vgpr14_vgpr15
                                        ; implicit-def: $vgpr26_vgpr27
                                        ; implicit-def: $vgpr38_vgpr39
                                        ; implicit-def: $vgpr42_vgpr43
                                        ; implicit-def: $vgpr46_vgpr47
                                        ; implicit-def: $vgpr50_vgpr51
                                        ; implicit-def: $vgpr30_vgpr31
	s_wait_kmcnt 0x0
	v_mul_lo_u32 v3, s2, v8
	v_mul_lo_u32 v4, s3, v7
	v_mad_co_u64_u32 v[1:2], null, s2, v7, v[1:2]
	v_cmp_gt_u64_e32 vcc_lo, s[0:1], v[7:8]
                                        ; implicit-def: $vgpr6_vgpr7
	s_delay_alu instid0(VALU_DEP_2) | instskip(SKIP_1) | instid1(VALU_DEP_2)
	v_add3_u32 v2, v4, v2, v3
	v_mul_u32_u24_e32 v3, 26, v5
	v_lshlrev_b64_e32 v[76:77], 4, v[1:2]
	s_delay_alu instid0(VALU_DEP_2)
	v_sub_nc_u32_e32 v80, v0, v3
                                        ; implicit-def: $vgpr2_vgpr3
	s_and_saveexec_b32 s1, vcc_lo
; %bb.10:
	v_mov_b32_e32 v81, 0
	s_delay_alu instid0(VALU_DEP_3) | instskip(SKIP_2) | instid1(VALU_DEP_3)
	v_add_co_u32 v2, s0, s8, v76
	s_wait_alu 0xf1ff
	v_add_co_ci_u32_e64 v3, s0, s9, v77, s0
	v_lshlrev_b64_e32 v[0:1], 4, v[80:81]
	v_dual_mov_b32 v78, v80 :: v_dual_mov_b32 v79, v81
	s_delay_alu instid0(VALU_DEP_2) | instskip(SKIP_1) | instid1(VALU_DEP_3)
	v_add_co_u32 v0, s0, v2, v0
	s_wait_alu 0xf1ff
	v_add_co_ci_u32_e64 v1, s0, v3, v1, s0
	s_clause 0xc
	global_load_b128 v[28:31], v[0:1], off
	global_load_b128 v[48:51], v[0:1], off offset:416
	global_load_b128 v[44:47], v[0:1], off offset:832
	;; [unrolled: 1-line block ×12, first 2 shown]
; %bb.11:
	s_wait_alu 0xfffe
	s_or_b32 exec_lo, exec_lo, s1
	s_wait_loadcnt 0xb
	v_add_f64_e32 v[52:53], v[48:49], v[28:29]
	s_wait_loadcnt 0x0
	v_add_f64_e64 v[55:56], v[50:51], -v[2:3]
	s_mov_b32 s42, 0x4267c47c
	s_mov_b32 s28, 0x42a4c3d2
	;; [unrolled: 1-line block ×10, first 2 shown]
	v_add_f64_e64 v[57:58], v[46:47], -v[6:7]
	v_add_f64_e32 v[59:60], v[0:1], v[48:49]
	s_mov_b32 s34, 0x66966769
	s_mov_b32 s35, 0xbfefc445
	;; [unrolled: 1-line block ×13, first 2 shown]
	s_wait_alu 0xfffe
	s_mov_b32 s38, s22
	s_mov_b32 s20, s34
	;; [unrolled: 1-line block ×6, first 2 shown]
	v_add_f64_e64 v[71:72], v[42:43], -v[10:11]
	v_add_f64_e32 v[73:74], v[4:5], v[44:45]
	s_mov_b32 s3, 0x3fbedb7d
	s_mov_b32 s41, 0x3fedeba7
	;; [unrolled: 1-line block ×3, first 2 shown]
	v_add_f64_e32 v[52:53], v[44:45], v[52:53]
	v_mul_f64_e32 v[61:62], s[42:43], v[55:56]
	v_mul_f64_e32 v[63:64], s[28:29], v[55:56]
	v_mul_f64_e32 v[65:66], s[18:19], v[55:56]
	v_mul_f64_e32 v[67:68], s[22:23], v[55:56]
	v_mul_f64_e32 v[69:70], s[24:25], v[55:56]
	v_mul_f64_e32 v[55:56], s[34:35], v[55:56]
	v_add_f64_e64 v[103:104], v[38:39], -v[22:23]
	s_mov_b32 s37, 0x3fcea1e5
	s_mov_b32 s36, s24
	;; [unrolled: 1-line block ×4, first 2 shown]
	v_mul_f64_e32 v[81:82], s[28:29], v[57:58]
	v_mul_f64_e32 v[83:84], s[18:19], v[57:58]
	;; [unrolled: 1-line block ×4, first 2 shown]
	s_wait_alu 0xfffe
	v_mul_f64_e32 v[89:90], s[20:21], v[57:58]
	v_mul_f64_e32 v[57:58], s[26:27], v[57:58]
	;; [unrolled: 1-line block ×7, first 2 shown]
	v_add_f64_e32 v[52:53], v[40:41], v[52:53]
	v_fma_f64 v[91:92], v[59:60], s[12:13], v[61:62]
	v_fma_f64 v[93:94], v[59:60], s[6:7], -v[63:64]
	v_fma_f64 v[95:96], v[59:60], s[10:11], v[65:66]
	v_fma_f64 v[65:66], v[59:60], s[10:11], -v[65:66]
	v_fma_f64 v[97:98], v[59:60], s[14:15], v[67:68]
	v_fma_f64 v[99:100], v[59:60], s[16:17], v[69:70]
	v_fma_f64 v[69:70], v[59:60], s[16:17], -v[69:70]
	v_fma_f64 v[61:62], v[59:60], s[12:13], -v[61:62]
	v_fma_f64 v[67:68], v[59:60], s[14:15], -v[67:68]
	v_fma_f64 v[101:102], v[59:60], s[2:3], -v[55:56]
	v_fma_f64 v[63:64], v[59:60], s[6:7], v[63:64]
	v_fma_f64 v[55:56], v[59:60], s[2:3], v[55:56]
	v_add_f64_e32 v[59:60], v[8:9], v[40:41]
	v_mul_f64_e32 v[71:72], s[22:23], v[71:72]
	v_fma_f64 v[115:116], v[73:74], s[6:7], v[81:82]
	v_fma_f64 v[81:82], v[73:74], s[6:7], -v[81:82]
	v_fma_f64 v[117:118], v[73:74], s[10:11], v[83:84]
	v_fma_f64 v[83:84], v[73:74], s[10:11], -v[83:84]
	;; [unrolled: 2-line block ×6, first 2 shown]
	v_mul_f64_e32 v[127:128], s[18:19], v[103:104]
	v_mul_f64_e32 v[129:130], s[38:39], v[103:104]
	v_mul_f64_e32 v[133:134], s[34:35], v[103:104]
	v_mul_f64_e32 v[135:136], s[36:37], v[103:104]
	v_mul_f64_e32 v[131:132], s[26:27], v[103:104]
	v_mul_f64_e32 v[103:104], s[30:31], v[103:104]
	v_add_f64_e32 v[52:53], v[36:37], v[52:53]
	v_add_f64_e32 v[73:74], v[28:29], v[91:92]
	;; [unrolled: 1-line block ×14, first 2 shown]
	v_add_f64_e64 v[101:102], v[26:27], -v[34:35]
	v_fma_f64 v[137:138], v[59:60], s[2:3], v[105:106]
	v_fma_f64 v[105:106], v[59:60], s[2:3], -v[105:106]
	v_fma_f64 v[139:140], v[59:60], s[16:17], v[107:108]
	v_fma_f64 v[107:108], v[59:60], s[16:17], -v[107:108]
	;; [unrolled: 2-line block ×6, first 2 shown]
	v_add_f64_e32 v[52:53], v[24:25], v[52:53]
	v_add_f64_e32 v[71:72], v[115:116], v[73:74]
	;; [unrolled: 1-line block ×14, first 2 shown]
	v_add_f64_e64 v[85:86], v[14:15], -v[18:19]
	v_mul_f64_e32 v[89:90], s[22:23], v[101:102]
	v_mul_f64_e32 v[93:94], s[20:21], v[101:102]
	;; [unrolled: 1-line block ×4, first 2 shown]
	v_fma_f64 v[115:116], v[55:56], s[10:11], v[127:128]
	v_fma_f64 v[117:118], v[55:56], s[10:11], -v[127:128]
	v_fma_f64 v[119:120], v[55:56], s[14:15], v[129:130]
	v_fma_f64 v[121:122], v[55:56], s[14:15], -v[129:130]
	v_fma_f64 v[127:128], v[55:56], s[2:3], v[133:134]
	v_fma_f64 v[129:130], v[55:56], s[2:3], -v[133:134]
	v_fma_f64 v[133:134], v[55:56], s[16:17], v[135:136]
	v_mul_f64_e32 v[95:96], s[28:29], v[101:102]
	v_mul_f64_e32 v[101:102], s[18:19], v[101:102]
	v_fma_f64 v[123:124], v[55:56], s[12:13], v[131:132]
	v_fma_f64 v[125:126], v[55:56], s[12:13], -v[131:132]
	v_fma_f64 v[131:132], v[55:56], s[6:7], v[103:104]
	v_fma_f64 v[103:104], v[55:56], s[6:7], -v[103:104]
	v_fma_f64 v[55:56], v[55:56], s[16:17], -v[135:136]
	v_add_f64_e32 v[52:53], v[12:13], v[52:53]
	v_add_f64_e32 v[71:72], v[137:138], v[71:72]
	;; [unrolled: 1-line block ×14, first 2 shown]
	v_mul_f64_e32 v[105:106], s[24:25], v[85:86]
	v_mul_f64_e32 v[107:108], s[26:27], v[85:86]
	;; [unrolled: 1-line block ×4, first 2 shown]
	v_fma_f64 v[135:136], v[81:82], s[14:15], v[89:90]
	v_fma_f64 v[137:138], v[81:82], s[2:3], v[93:94]
	v_fma_f64 v[93:94], v[81:82], s[2:3], -v[93:94]
	v_fma_f64 v[141:142], v[81:82], s[16:17], v[97:98]
	v_fma_f64 v[145:146], v[81:82], s[12:13], v[99:100]
	v_mul_f64_e32 v[109:110], s[22:23], v[85:86]
	v_mul_f64_e32 v[85:86], s[20:21], v[85:86]
	v_fma_f64 v[89:90], v[81:82], s[14:15], -v[89:90]
	v_fma_f64 v[139:140], v[81:82], s[6:7], v[95:96]
	v_fma_f64 v[143:144], v[81:82], s[10:11], v[101:102]
	v_fma_f64 v[101:102], v[81:82], s[10:11], -v[101:102]
	v_fma_f64 v[95:96], v[81:82], s[6:7], -v[95:96]
	;; [unrolled: 1-line block ×4, first 2 shown]
	v_add_f64_e32 v[52:53], v[16:17], v[52:53]
	v_add_f64_e32 v[71:72], v[115:116], v[71:72]
	v_add_f64_e32 v[73:74], v[121:122], v[73:74]
	v_add_f64_e32 v[83:84], v[127:128], v[83:84]
	v_add_f64_e32 v[65:66], v[129:130], v[65:66]
	v_add_f64_e32 v[87:88], v[133:134], v[87:88]
	v_add_f64_e32 v[91:92], v[131:132], v[91:92]
	v_add_f64_e32 v[57:58], v[103:104], v[57:58]
	v_add_f64_e32 v[59:60], v[117:118], v[59:60]
	v_add_f64_e32 v[55:56], v[55:56], v[61:62]
	v_add_f64_e32 v[61:62], v[125:126], v[67:68]
	v_add_f64_e32 v[63:64], v[119:120], v[63:64]
	v_add_f64_e32 v[28:29], v[123:124], v[28:29]
	v_fma_f64 v[67:68], v[69:70], s[16:17], v[105:106]
	v_fma_f64 v[99:100], v[69:70], s[16:17], -v[105:106]
	v_fma_f64 v[105:106], v[69:70], s[12:13], -v[107:108]
	v_fma_f64 v[115:116], v[69:70], s[6:7], v[111:112]
	v_fma_f64 v[119:120], v[69:70], s[10:11], v[113:114]
	;; [unrolled: 1-line block ×3, first 2 shown]
	v_fma_f64 v[111:112], v[69:70], s[6:7], -v[111:112]
	v_fma_f64 v[107:108], v[69:70], s[14:15], v[109:110]
	v_fma_f64 v[117:118], v[69:70], s[2:3], v[85:86]
	v_fma_f64 v[85:86], v[69:70], s[2:3], -v[85:86]
	v_fma_f64 v[109:110], v[69:70], s[14:15], -v[109:110]
	;; [unrolled: 1-line block ×3, first 2 shown]
	v_add_f64_e32 v[52:53], v[32:33], v[52:53]
	v_add_f64_e32 v[71:72], v[135:136], v[71:72]
	;; [unrolled: 1-line block ×23, first 2 shown]
	v_and_b32_e32 v28, 1, v54
	s_delay_alu instid0(VALU_DEP_1) | instskip(SKIP_1) | instid1(VALU_DEP_1)
	v_cmp_eq_u32_e64 s0, 1, v28
	s_wait_alu 0xf1ff
	v_cndmask_b32_e64 v91, 0, 0x152, s0
	v_cmp_gt_u32_e64 s0, 13, v80
	s_delay_alu instid0(VALU_DEP_2) | instskip(NEXT) | instid1(VALU_DEP_1)
	v_lshl_add_u32 v29, v91, 3, 0
	v_mad_u32_u24 v28, 0x68, v80, v29
	v_lshl_add_u32 v89, v80, 3, v29
	s_delay_alu instid0(VALU_DEP_2) | instskip(SKIP_1) | instid1(VALU_DEP_2)
	v_mad_i32_i24 v90, 0xffffffa0, v80, v28
	v_add_f64_e32 v[52:53], v[8:9], v[52:53]
	v_add_nc_u32_e32 v29, 0x400, v90
	s_delay_alu instid0(VALU_DEP_2) | instskip(SKIP_3) | instid1(VALU_DEP_4)
	v_add_f64_e32 v[81:82], v[4:5], v[52:53]
	v_add_f64_e32 v[52:53], v[99:100], v[59:60]
	;; [unrolled: 1-line block ×5, first 2 shown]
	ds_store_2addr_b64 v28, v[73:74], v[83:84] offset0:4 offset1:5
	ds_store_2addr_b64 v28, v[87:88], v[57:58] offset0:6 offset1:7
	;; [unrolled: 1-line block ×4, first 2 shown]
	ds_store_b64 v28, v[52:53] offset:96
	ds_store_2addr_b64 v28, v[63:64], v[67:68] offset1:1
	ds_store_2addr_b64 v28, v[61:62], v[69:70] offset0:2 offset1:3
	global_wb scope:SCOPE_SE
	s_wait_dscnt 0x0
	s_barrier_signal -1
	s_barrier_wait -1
	global_inv scope:SCOPE_SE
	ds_load_2addr_b64 v[64:67], v90 offset0:130 offset1:169
	ds_load_2addr_b64 v[68:71], v90 offset0:26 offset1:52
	;; [unrolled: 1-line block ×5, first 2 shown]
	ds_load_b64 v[83:84], v89
	ds_load_b64 v[81:82], v90 offset:2392
	s_and_saveexec_b32 s1, s0
	s_cbranch_execz .LBB0_13
; %bb.12:
	ds_load_2addr_b64 v[52:55], v29 offset0:28 offset1:197
.LBB0_13:
	s_wait_alu 0xfffe
	s_or_b32 exec_lo, exec_lo, s1
	v_add_f64_e32 v[85:86], v[50:51], v[30:31]
	v_add_f64_e64 v[0:1], v[48:49], -v[0:1]
	v_add_f64_e64 v[4:5], v[44:45], -v[4:5]
	v_add_f64_e32 v[44:45], v[2:3], v[50:51]
	v_add_f64_e64 v[8:9], v[40:41], -v[8:9]
	v_add_f64_e32 v[40:41], v[6:7], v[46:47]
	v_add_f64_e64 v[20:21], v[36:37], -v[20:21]
	v_add_f64_e64 v[24:25], v[24:25], -v[32:33]
	;; [unrolled: 1-line block ×3, first 2 shown]
	global_wb scope:SCOPE_SE
	s_wait_dscnt 0x0
	s_barrier_signal -1
	s_barrier_wait -1
	global_inv scope:SCOPE_SE
	v_add_f64_e32 v[85:86], v[46:47], v[85:86]
	v_mul_f64_e32 v[50:51], s[42:43], v[0:1]
	v_mul_f64_e32 v[87:88], s[18:19], v[0:1]
	;; [unrolled: 1-line block ×18, first 2 shown]
	v_add_f64_e32 v[85:86], v[42:43], v[85:86]
	v_fma_f64 v[104:105], v[44:45], s[12:13], -v[50:51]
	v_fma_f64 v[50:51], v[44:45], s[12:13], v[50:51]
	v_fma_f64 v[108:109], v[44:45], s[10:11], -v[87:88]
	v_fma_f64 v[110:111], v[44:45], s[14:15], -v[92:93]
	v_fma_f64 v[87:88], v[44:45], s[10:11], v[87:88]
	v_fma_f64 v[112:113], v[44:45], s[16:17], -v[94:95]
	v_fma_f64 v[94:95], v[44:45], s[16:17], v[94:95]
	v_fma_f64 v[92:93], v[44:45], s[14:15], v[92:93]
	v_add_f64_e32 v[42:43], v[10:11], v[42:43]
	v_fma_f64 v[122:123], v[40:41], s[6:7], -v[46:47]
	v_fma_f64 v[46:47], v[40:41], s[6:7], v[46:47]
	v_fma_f64 v[124:125], v[40:41], s[10:11], -v[96:97]
	v_fma_f64 v[96:97], v[40:41], s[10:11], v[96:97]
	;; [unrolled: 2-line block ×6, first 2 shown]
	v_add_f64_e32 v[48:49], v[38:39], v[85:86]
	v_mul_f64_e32 v[85:86], s[28:29], v[0:1]
	v_mul_f64_e32 v[0:1], s[34:35], v[0:1]
	v_add_f64_e32 v[40:41], v[30:31], v[104:105]
	v_add_f64_e32 v[50:51], v[30:31], v[50:51]
	;; [unrolled: 1-line block ×5, first 2 shown]
	v_fma_f64 v[138:139], v[42:43], s[2:3], -v[36:37]
	v_fma_f64 v[36:37], v[42:43], s[2:3], v[36:37]
	v_fma_f64 v[142:143], v[42:43], s[10:11], -v[116:117]
	v_fma_f64 v[116:117], v[42:43], s[10:11], v[116:117]
	;; [unrolled: 2-line block ×4, first 2 shown]
	v_add_f64_e32 v[48:49], v[26:27], v[48:49]
	v_fma_f64 v[106:107], v[44:45], s[6:7], v[85:86]
	v_fma_f64 v[114:115], v[44:45], s[2:3], v[0:1]
	v_fma_f64 v[85:86], v[44:45], s[6:7], -v[85:86]
	v_fma_f64 v[0:1], v[44:45], s[2:3], -v[0:1]
	v_mul_f64_e32 v[44:45], s[24:25], v[8:9]
	v_mul_f64_e32 v[8:9], s[22:23], v[8:9]
	v_add_f64_e32 v[40:41], v[122:123], v[40:41]
	v_add_f64_e32 v[87:88], v[100:101], v[87:88]
	v_add_f64_e32 v[4:5], v[4:5], v[94:95]
	v_add_f64_e32 v[92:93], v[102:103], v[92:93]
	v_add_f64_e32 v[26:27], v[34:35], v[26:27]
	v_mul_f64_e32 v[102:103], s[36:37], v[24:25]
	v_add_f64_e32 v[48:49], v[14:15], v[48:49]
	v_add_f64_e32 v[104:105], v[30:31], v[106:107]
	v_add_f64_e32 v[106:107], v[30:31], v[108:109]
	v_add_f64_e32 v[108:109], v[30:31], v[110:111]
	v_add_f64_e32 v[110:111], v[30:31], v[112:113]
	v_add_f64_e32 v[112:113], v[30:31], v[114:115]
	v_add_f64_e32 v[85:86], v[30:31], v[85:86]
	v_add_f64_e32 v[0:1], v[30:31], v[0:1]
	v_add_f64_e32 v[30:31], v[22:23], v[38:39]
	v_mul_f64_e32 v[38:39], s[38:39], v[20:21]
	v_mul_f64_e32 v[114:115], s[26:27], v[20:21]
	;; [unrolled: 1-line block ×3, first 2 shown]
	v_fma_f64 v[140:141], v[42:43], s[16:17], -v[44:45]
	v_fma_f64 v[44:45], v[42:43], s[16:17], v[44:45]
	v_fma_f64 v[148:149], v[42:43], s[14:15], -v[8:9]
	v_fma_f64 v[8:9], v[42:43], s[14:15], v[8:9]
	v_add_f64_e32 v[42:43], v[46:47], v[50:51]
	v_add_f64_e32 v[14:15], v[18:19], v[14:15]
	v_add_f64_e32 v[48:49], v[18:19], v[48:49]
	v_add_f64_e32 v[46:47], v[96:97], v[104:105]
	v_add_f64_e32 v[50:51], v[128:129], v[106:107]
	v_add_f64_e32 v[96:97], v[130:131], v[108:109]
	v_add_f64_e32 v[100:101], v[132:133], v[110:111]
	v_add_f64_e32 v[94:95], v[98:99], v[112:113]
	v_add_f64_e32 v[85:86], v[124:125], v[85:86]
	v_add_f64_e32 v[0:1], v[126:127], v[0:1]
	v_mul_f64_e32 v[98:99], s[28:29], v[24:25]
	v_mul_f64_e32 v[104:105], s[26:27], v[24:25]
	v_fma_f64 v[106:107], v[30:31], s[10:11], -v[32:33]
	v_fma_f64 v[32:33], v[30:31], s[10:11], v[32:33]
	v_fma_f64 v[108:109], v[30:31], s[14:15], -v[38:39]
	v_fma_f64 v[38:39], v[30:31], s[14:15], v[38:39]
	;; [unrolled: 2-line block ×6, first 2 shown]
	v_add_f64_e32 v[30:31], v[138:139], v[40:41]
	v_add_f64_e32 v[36:37], v[36:37], v[42:43]
	;; [unrolled: 1-line block ×4, first 2 shown]
	v_mul_f64_e32 v[18:19], s[24:25], v[12:13]
	v_mul_f64_e32 v[92:93], s[22:23], v[12:13]
	v_fma_f64 v[120:121], v[26:27], s[16:17], -v[102:103]
	v_fma_f64 v[102:103], v[26:27], s[16:17], v[102:103]
	v_add_f64_e32 v[48:49], v[34:35], v[48:49]
	v_mul_f64_e32 v[34:35], s[20:21], v[24:25]
	v_mul_f64_e32 v[24:25], s[18:19], v[24:25]
	v_add_f64_e32 v[40:41], v[44:45], v[46:47]
	v_add_f64_e32 v[42:43], v[144:145], v[50:51]
	;; [unrolled: 1-line block ×8, first 2 shown]
	v_mul_f64_e32 v[94:95], s[30:31], v[12:13]
	v_mul_f64_e32 v[96:97], s[18:19], v[12:13]
	v_fma_f64 v[100:101], v[26:27], s[14:15], -v[16:17]
	v_fma_f64 v[16:17], v[26:27], s[14:15], v[16:17]
	v_fma_f64 v[118:119], v[26:27], s[6:7], -v[98:99]
	v_fma_f64 v[98:99], v[26:27], s[6:7], v[98:99]
	v_fma_f64 v[130:131], v[26:27], s[12:13], -v[104:105]
	v_fma_f64 v[104:105], v[26:27], s[12:13], v[104:105]
	v_add_f64_e32 v[4:5], v[20:21], v[4:5]
	v_add_f64_e32 v[8:9], v[126:127], v[8:9]
	;; [unrolled: 1-line block ×3, first 2 shown]
	v_mul_f64_e32 v[48:49], s[26:27], v[12:13]
	v_mul_f64_e32 v[12:13], s[20:21], v[12:13]
	v_fma_f64 v[116:117], v[26:27], s[2:3], -v[34:35]
	v_fma_f64 v[34:35], v[26:27], s[2:3], v[34:35]
	v_fma_f64 v[132:133], v[26:27], s[10:11], -v[24:25]
	v_fma_f64 v[24:25], v[26:27], s[10:11], v[24:25]
	v_add_f64_e32 v[26:27], v[106:107], v[30:31]
	v_add_f64_e32 v[30:31], v[32:33], v[36:37]
	;; [unrolled: 1-line block ×10, first 2 shown]
	v_fma_f64 v[50:51], v[14:15], s[14:15], -v[92:93]
	v_fma_f64 v[85:86], v[14:15], s[14:15], v[92:93]
	v_fma_f64 v[87:88], v[14:15], s[6:7], -v[94:95]
	v_fma_f64 v[92:93], v[14:15], s[6:7], v[94:95]
	;; [unrolled: 2-line block ×3, first 2 shown]
	v_add_f64_e32 v[8:9], v[104:105], v[8:9]
	v_add_f64_e32 v[10:11], v[10:11], v[22:23]
	v_fma_f64 v[22:23], v[14:15], s[16:17], -v[18:19]
	v_fma_f64 v[18:19], v[14:15], s[16:17], v[18:19]
	v_fma_f64 v[46:47], v[14:15], s[12:13], -v[48:49]
	v_fma_f64 v[48:49], v[14:15], s[12:13], v[48:49]
	;; [unrolled: 2-line block ×3, first 2 shown]
	v_add_f64_e32 v[14:15], v[100:101], v[26:27]
	v_add_f64_e32 v[16:17], v[16:17], v[30:31]
	;; [unrolled: 1-line block ×25, first 2 shown]
	ds_store_2addr_b64 v28, v[16:17], v[22:23] offset0:4 offset1:5
	ds_store_2addr_b64 v28, v[26:27], v[4:5] offset0:6 offset1:7
	;; [unrolled: 1-line block ×4, first 2 shown]
	ds_store_b64 v28, v[20:21] offset:96
	ds_store_2addr_b64 v28, v[2:3], v[10:11] offset1:1
	ds_store_2addr_b64 v28, v[24:25], v[0:1] offset0:2 offset1:3
	global_wb scope:SCOPE_SE
	s_wait_dscnt 0x0
	s_barrier_signal -1
	s_barrier_wait -1
	global_inv scope:SCOPE_SE
	ds_load_2addr_b64 v[0:3], v90 offset0:130 offset1:169
	ds_load_2addr_b64 v[4:7], v90 offset0:26 offset1:52
	;; [unrolled: 1-line block ×5, first 2 shown]
	ds_load_b64 v[85:86], v89
	ds_load_b64 v[87:88], v90 offset:2392
	s_and_saveexec_b32 s1, s0
	s_cbranch_execz .LBB0_15
; %bb.14:
	v_add_nc_u32_e32 v20, 0x400, v90
	ds_load_2addr_b64 v[20:23], v20 offset0:28 offset1:197
.LBB0_15:
	s_wait_alu 0xfffe
	s_or_b32 exec_lo, exec_lo, s1
	v_add_nc_u16 v26, v80, 26
	v_add_nc_u16 v27, v80, 52
	;; [unrolled: 1-line block ×5, first 2 shown]
	v_and_b32_e32 v31, 0xff, v26
	v_and_b32_e32 v32, 0xff, v27
	;; [unrolled: 1-line block ×5, first 2 shown]
	v_mul_lo_u16 v31, 0x4f, v31
	v_mul_lo_u16 v32, 0x4f, v32
	;; [unrolled: 1-line block ×5, first 2 shown]
	v_lshrrev_b16 v113, 10, v31
	v_dual_mov_b32 v93, 0 :: v_dual_add_nc_u32 v24, -13, v80
	v_lshrrev_b16 v114, 10, v32
	v_lshrrev_b16 v115, 10, v33
	;; [unrolled: 1-line block ×4, first 2 shown]
	v_mul_lo_u16 v31, v113, 13
	v_cndmask_b32_e64 v92, v24, v80, s0
	v_mul_lo_u16 v32, v114, 13
	v_mul_lo_u16 v33, v115, 13
	;; [unrolled: 1-line block ×4, first 2 shown]
	v_sub_nc_u16 v26, v26, v31
	v_lshlrev_b64_e32 v[24:25], 4, v[92:93]
	v_sub_nc_u16 v27, v27, v32
	v_sub_nc_u16 v28, v28, v33
	v_sub_nc_u16 v29, v29, v34
	v_sub_nc_u16 v30, v30, v35
	v_and_b32_e32 v118, 0xff, v26
	v_and_b32_e32 v119, 0xff, v27
	v_add_co_u32 v24, s1, s4, v24
	v_and_b32_e32 v120, 0xff, v28
	v_and_b32_e32 v121, 0xff, v29
	;; [unrolled: 1-line block ×3, first 2 shown]
	s_wait_alu 0xf1ff
	v_add_co_ci_u32_e64 v25, s1, s5, v25, s1
	v_lshlrev_b32_e32 v26, 4, v118
	v_lshlrev_b32_e32 v27, 4, v119
	;; [unrolled: 1-line block ×5, first 2 shown]
	s_clause 0x5
	global_load_b128 v[28:31], v[24:25], off
	global_load_b128 v[32:35], v26, s[4:5]
	global_load_b128 v[36:39], v27, s[4:5]
	;; [unrolled: 1-line block ×5, first 2 shown]
	v_add_nc_u16 v24, v80, 0x9c
	v_cmp_lt_u32_e64 s1, 12, v80
	v_lshlrev_b32_e32 v91, 3, v91
	s_delay_alu instid0(VALU_DEP_3) | instskip(SKIP_1) | instid1(VALU_DEP_3)
	v_and_b32_e32 v25, 0xff, v24
	s_wait_alu 0xf1ff
	v_cndmask_b32_e64 v124, 0, 0xd0, s1
	s_delay_alu instid0(VALU_DEP_2) | instskip(NEXT) | instid1(VALU_DEP_1)
	v_mul_lo_u16 v25, 0x4f, v25
	v_lshrrev_b16 v25, 10, v25
	s_delay_alu instid0(VALU_DEP_1) | instskip(NEXT) | instid1(VALU_DEP_1)
	v_mul_lo_u16 v25, v25, 13
	v_sub_nc_u16 v24, v24, v25
	s_delay_alu instid0(VALU_DEP_1) | instskip(NEXT) | instid1(VALU_DEP_1)
	v_and_b32_e32 v123, 0xff, v24
	v_lshlrev_b32_e32 v24, 4, v123
	global_load_b128 v[24:27], v24, s[4:5]
	global_wb scope:SCOPE_SE
	s_wait_loadcnt_dscnt 0x0
	s_barrier_signal -1
	s_barrier_wait -1
	global_inv scope:SCOPE_SE
	v_mul_f64_e32 v[93:94], v[2:3], v[30:31]
	v_mul_f64_e32 v[95:96], v[12:13], v[34:35]
	;; [unrolled: 1-line block ×6, first 2 shown]
	v_fma_f64 v[93:94], v[66:67], v[28:29], v[93:94]
	v_fma_f64 v[95:96], v[60:61], v[32:33], v[95:96]
	;; [unrolled: 1-line block ×6, first 2 shown]
	v_add_f64_e64 v[93:94], v[83:84], -v[93:94]
	v_add_f64_e64 v[95:96], v[68:69], -v[95:96]
	;; [unrolled: 1-line block ×6, first 2 shown]
	v_fma_f64 v[83:84], v[83:84], 2.0, -v[93:94]
	v_fma_f64 v[105:106], v[68:69], 2.0, -v[95:96]
	;; [unrolled: 1-line block ×6, first 2 shown]
	v_add_nc_u32_e32 v64, 0, v124
	v_lshlrev_b32_e32 v65, 3, v92
	v_and_b32_e32 v68, 0xffff, v114
	v_and_b32_e32 v69, 0xffff, v115
	;; [unrolled: 1-line block ×4, first 2 shown]
	v_add3_u32 v64, v64, v65, v91
	v_and_b32_e32 v65, 0xffff, v113
	v_mad_u32_u24 v75, 0xd0, v68, 0
	v_mad_u32_u24 v92, 0xd0, v69, 0
	;; [unrolled: 1-line block ×5, first 2 shown]
	v_lshlrev_b32_e32 v68, 3, v118
	v_lshlrev_b32_e32 v69, 3, v119
	;; [unrolled: 1-line block ×6, first 2 shown]
	v_add3_u32 v68, v72, v68, v91
	v_add3_u32 v69, v75, v69, v91
	;; [unrolled: 1-line block ×5, first 2 shown]
	ds_store_2addr_b64 v64, v[83:84], v[93:94] offset1:13
	ds_store_2addr_b64 v68, v[105:106], v[95:96] offset1:13
	;; [unrolled: 1-line block ×6, first 2 shown]
	s_and_saveexec_b32 s1, s0
	s_cbranch_execz .LBB0_17
; %bb.16:
	v_mul_f64_e32 v[73:74], v[22:23], v[26:27]
	v_add3_u32 v75, 0, v65, v91
	s_delay_alu instid0(VALU_DEP_1) | instskip(NEXT) | instid1(VALU_DEP_3)
	v_add_nc_u32_e32 v75, 0x800, v75
	v_fma_f64 v[73:74], v[54:55], v[24:25], v[73:74]
	s_delay_alu instid0(VALU_DEP_1) | instskip(NEXT) | instid1(VALU_DEP_1)
	v_add_f64_e64 v[73:74], v[52:53], -v[73:74]
	v_fma_f64 v[52:53], v[52:53], 2.0, -v[73:74]
	ds_store_2addr_b64 v75, v[52:53], v[73:74] offset0:56 offset1:69
.LBB0_17:
	s_wait_alu 0xfffe
	s_or_b32 exec_lo, exec_lo, s1
	v_mul_f64_e32 v[30:31], v[66:67], v[30:31]
	v_mul_f64_e32 v[34:35], v[60:61], v[34:35]
	;; [unrolled: 1-line block ×6, first 2 shown]
	global_wb scope:SCOPE_SE
	s_wait_dscnt 0x0
	s_barrier_signal -1
	s_barrier_wait -1
	global_inv scope:SCOPE_SE
	v_fma_f64 v[2:3], v[2:3], v[28:29], -v[30:31]
	v_fma_f64 v[12:13], v[12:13], v[32:33], -v[34:35]
	;; [unrolled: 1-line block ×6, first 2 shown]
	v_add_f64_e64 v[30:31], v[85:86], -v[2:3]
	v_add_f64_e64 v[32:33], v[4:5], -v[12:13]
	;; [unrolled: 1-line block ×6, first 2 shown]
	v_fma_f64 v[46:47], v[85:86], 2.0, -v[30:31]
	v_fma_f64 v[49:50], v[4:5], 2.0, -v[32:33]
	;; [unrolled: 1-line block ×6, first 2 shown]
	v_lshlrev_b32_e32 v0, 3, v80
	s_delay_alu instid0(VALU_DEP_1)
	v_add3_u32 v48, 0, v0, v91
	ds_load_2addr_b64 v[0:3], v90 offset0:26 offset1:52
	ds_load_2addr_b64 v[12:15], v90 offset0:78 offset1:104
	ds_load_2addr_b64 v[4:7], v48 offset0:156 offset1:182
	v_add_nc_u32_e32 v8, 0x800, v48
	ds_load_2addr_b64 v[16:19], v48 offset0:208 offset1:234
	ds_load_b64 v[28:29], v89
	ds_load_b64 v[44:45], v90 offset:1040
	ds_load_b64 v[40:41], v48 offset:2496
	ds_load_2addr_b64 v[8:11], v8 offset0:4 offset1:30
	global_wb scope:SCOPE_SE
	s_wait_dscnt 0x0
	s_barrier_signal -1
	s_barrier_wait -1
	global_inv scope:SCOPE_SE
	ds_store_2addr_b64 v64, v[46:47], v[30:31] offset1:13
	ds_store_2addr_b64 v68, v[49:50], v[32:33] offset1:13
	;; [unrolled: 1-line block ×6, first 2 shown]
	s_and_saveexec_b32 s1, s0
	s_cbranch_execz .LBB0_19
; %bb.18:
	v_mul_f64_e32 v[26:27], v[54:55], v[26:27]
	s_delay_alu instid0(VALU_DEP_1) | instskip(SKIP_1) | instid1(VALU_DEP_1)
	v_fma_f64 v[22:23], v[22:23], v[24:25], -v[26:27]
	v_add3_u32 v24, 0, v65, v91
	v_add_nc_u32_e32 v24, 0x800, v24
	s_delay_alu instid0(VALU_DEP_3) | instskip(NEXT) | instid1(VALU_DEP_1)
	v_add_f64_e64 v[22:23], v[20:21], -v[22:23]
	v_fma_f64 v[20:21], v[20:21], 2.0, -v[22:23]
	ds_store_2addr_b64 v24, v[20:21], v[22:23] offset0:56 offset1:69
.LBB0_19:
	s_wait_alu 0xfffe
	s_or_b32 exec_lo, exec_lo, s1
	global_wb scope:SCOPE_SE
	s_wait_dscnt 0x0
	s_barrier_signal -1
	s_barrier_wait -1
	global_inv scope:SCOPE_SE
	s_and_saveexec_b32 s0, vcc_lo
	s_cbranch_execz .LBB0_21
; %bb.20:
	v_mul_u32_u24_e32 v20, 12, v80
	s_mov_b32 s0, 0x93053d00
	s_mov_b32 s1, 0xbfef11f4
	;; [unrolled: 1-line block ×4, first 2 shown]
	v_lshlrev_b32_e32 v38, 4, v20
	s_mov_b32 s2, 0xe00740e9
	s_mov_b32 s3, 0x3fec55a7
	;; [unrolled: 1-line block ×4, first 2 shown]
	s_clause 0x1
	global_load_b128 v[20:23], v38, s[4:5] offset:320
	global_load_b128 v[49:52], v38, s[4:5] offset:304
	ds_load_2addr_b64 v[30:33], v48 offset0:208 offset1:234
	s_mov_b32 s10, 0xd0032e0c
	s_mov_b32 s11, 0xbfe7f3cc
	;; [unrolled: 1-line block ×13, first 2 shown]
	s_wait_alu 0xfffe
	s_mov_b32 s24, s22
	s_mov_b32 s31, 0x3fcea1e5
	;; [unrolled: 1-line block ×6, first 2 shown]
	s_wait_loadcnt 0x1
	v_mul_f64_e32 v[24:25], v[16:17], v[20:21]
	v_mul_f64_e32 v[16:17], v[16:17], v[22:23]
	s_wait_dscnt 0x0
	s_delay_alu instid0(VALU_DEP_2) | instskip(NEXT) | instid1(VALU_DEP_2)
	v_fma_f64 v[24:25], v[30:31], v[22:23], v[24:25]
	v_fma_f64 v[16:17], v[30:31], v[20:21], -v[16:17]
	s_clause 0x1
	global_load_b128 v[20:23], v38, s[4:5] offset:336
	global_load_b128 v[34:37], v38, s[4:5] offset:352
	s_wait_loadcnt 0x1
	v_mul_f64_e32 v[26:27], v[18:19], v[20:21]
	v_mul_f64_e32 v[30:31], v[18:19], v[22:23]
	s_delay_alu instid0(VALU_DEP_2) | instskip(NEXT) | instid1(VALU_DEP_2)
	v_fma_f64 v[18:19], v[32:33], v[22:23], v[26:27]
	v_fma_f64 v[20:21], v[32:33], v[20:21], -v[30:31]
	s_clause 0x1
	global_load_b128 v[30:33], v38, s[4:5] offset:256
	global_load_b128 v[53:56], v38, s[4:5] offset:240
	ds_load_2addr_b64 v[57:60], v90 offset0:78 offset1:104
	s_wait_loadcnt 0x1
	v_mul_f64_e32 v[22:23], v[14:15], v[30:31]
	v_mul_f64_e32 v[14:15], v[14:15], v[32:33]
	s_wait_loadcnt 0x0
	v_mul_f64_e32 v[26:27], v[12:13], v[53:54]
	v_mul_f64_e32 v[12:13], v[12:13], v[55:56]
	s_wait_dscnt 0x0
	s_delay_alu instid0(VALU_DEP_4) | instskip(NEXT) | instid1(VALU_DEP_4)
	v_fma_f64 v[22:23], v[59:60], v[32:33], v[22:23]
	v_fma_f64 v[14:15], v[59:60], v[30:31], -v[14:15]
	v_add_nc_u32_e32 v32, 0x800, v48
	s_delay_alu instid0(VALU_DEP_4)
	v_fma_f64 v[30:31], v[57:58], v[53:54], -v[12:13]
	v_mul_f64_e32 v[12:13], v[8:9], v[34:35]
	v_mul_f64_e32 v[8:9], v[8:9], v[36:37]
	v_fma_f64 v[26:27], v[57:58], v[55:56], v[26:27]
	ds_load_2addr_b64 v[53:56], v32 offset0:4 offset1:30
	v_add_f64_e64 v[122:123], v[22:23], -v[18:19]
	v_add_f64_e32 v[124:125], v[14:15], v[20:21]
	v_add_f64_e64 v[126:127], v[14:15], -v[20:21]
	v_add_f64_e32 v[128:129], v[22:23], v[18:19]
	s_wait_dscnt 0x0
	v_fma_f64 v[12:13], v[53:54], v[36:37], v[12:13]
	v_fma_f64 v[8:9], v[53:54], v[34:35], -v[8:9]
	s_clause 0x1
	global_load_b128 v[32:35], v38, s[4:5] offset:368
	global_load_b128 v[57:60], v38, s[4:5] offset:384
	s_wait_alu 0xfffe
	v_mul_f64_e32 v[118:119], s[28:29], v[122:123]
	v_mul_f64_e32 v[168:169], s[34:35], v[122:123]
	;; [unrolled: 1-line block ×4, first 2 shown]
	v_add_f64_e64 v[120:121], v[30:31], -v[8:9]
	s_delay_alu instid0(VALU_DEP_1) | instskip(SKIP_4) | instid1(VALU_DEP_2)
	v_mul_f64_e32 v[92:93], s[12:13], v[120:121]
	v_mul_f64_e32 v[116:117], s[6:7], v[120:121]
	s_wait_loadcnt 0x1
	v_mul_f64_e32 v[36:37], v[10:11], v[32:33]
	v_mul_f64_e32 v[42:43], v[10:11], v[34:35]
	v_fma_f64 v[10:11], v[55:56], v[34:35], v[36:37]
	s_delay_alu instid0(VALU_DEP_2)
	v_fma_f64 v[32:33], v[55:56], v[32:33], -v[42:43]
	s_clause 0x1
	global_load_b128 v[53:56], v38, s[4:5] offset:288
	global_load_b128 v[61:64], v38, s[4:5] offset:272
	ds_load_2addr_b64 v[65:68], v48 offset0:156 offset1:182
	s_wait_loadcnt 0x1
	v_mul_f64_e32 v[34:35], v[4:5], v[53:54]
	v_mul_f64_e32 v[4:5], v[4:5], v[55:56]
	s_wait_dscnt 0x0
	s_delay_alu instid0(VALU_DEP_2) | instskip(NEXT) | instid1(VALU_DEP_2)
	v_fma_f64 v[34:35], v[65:66], v[55:56], v[34:35]
	v_fma_f64 v[36:37], v[65:66], v[53:54], -v[4:5]
	v_mul_f64_e32 v[4:5], v[6:7], v[49:50]
	v_mul_f64_e32 v[6:7], v[6:7], v[51:52]
	s_delay_alu instid0(VALU_DEP_2) | instskip(NEXT) | instid1(VALU_DEP_2)
	v_fma_f64 v[4:5], v[67:68], v[51:52], v[4:5]
	v_fma_f64 v[6:7], v[67:68], v[49:50], -v[6:7]
	s_clause 0x1
	global_load_b128 v[49:52], v38, s[4:5] offset:224
	global_load_b128 v[53:56], v38, s[4:5] offset:208
	ds_load_2addr_b64 v[65:68], v90 offset0:26 offset1:52
	s_mov_b32 s4, 0x4bc48dbf
	s_mov_b32 s5, 0xbfcea1e5
	s_wait_alu 0xfffe
	s_mov_b32 s30, s4
	v_mul_f64_e32 v[166:167], s[4:5], v[120:121]
	v_add_f64_e64 v[138:139], v[34:35], -v[4:5]
	v_add_f64_e32 v[140:141], v[36:37], v[6:7]
	v_add_f64_e64 v[142:143], v[36:37], -v[6:7]
	v_add_f64_e32 v[144:145], v[34:35], v[4:5]
	s_delay_alu instid0(VALU_DEP_4) | instskip(SKIP_1) | instid1(VALU_DEP_4)
	v_mul_f64_e32 v[112:113], s[18:19], v[138:139]
	v_mul_f64_e32 v[152:153], s[22:23], v[138:139]
	;; [unrolled: 1-line block ×8, first 2 shown]
	s_wait_loadcnt 0x1
	v_mul_f64_e32 v[38:39], v[2:3], v[49:50]
	v_mul_f64_e32 v[2:3], v[2:3], v[51:52]
	s_wait_loadcnt 0x0
	v_mul_f64_e32 v[42:43], v[0:1], v[53:54]
	v_mul_f64_e32 v[0:1], v[0:1], v[55:56]
	s_wait_dscnt 0x0
	s_delay_alu instid0(VALU_DEP_4) | instskip(NEXT) | instid1(VALU_DEP_4)
	v_fma_f64 v[38:39], v[67:68], v[51:52], v[38:39]
	v_fma_f64 v[2:3], v[67:68], v[49:50], -v[2:3]
	v_mul_f64_e32 v[49:50], v[44:45], v[61:62]
	v_mul_f64_e32 v[44:45], v[44:45], v[63:64]
	v_fma_f64 v[46:47], v[65:66], v[53:54], -v[0:1]
	ds_load_b64 v[51:52], v90 offset:1040
	ds_load_b64 v[53:54], v48 offset:2496
	ds_load_b64 v[0:1], v89
	v_fma_f64 v[42:43], v[65:66], v[55:56], v[42:43]
	v_mul_f64_e32 v[55:56], v[40:41], v[59:60]
	v_add_f64_e64 v[70:71], v[2:3], -v[32:33]
	s_wait_dscnt 0x2
	v_fma_f64 v[48:49], v[51:52], v[63:64], v[49:50]
	v_fma_f64 v[50:51], v[51:52], v[61:62], -v[44:45]
	v_mul_f64_e32 v[44:45], v[40:41], v[57:58]
	v_add_f64_e64 v[64:65], v[38:39], -v[10:11]
	v_mul_f64_e32 v[88:89], s[6:7], v[70:71]
	v_add_f64_e64 v[130:131], v[48:49], -v[24:25]
	v_add_f64_e32 v[132:133], v[50:51], v[16:17]
	s_wait_dscnt 0x1
	v_fma_f64 v[40:41], v[53:54], v[59:60], v[44:45]
	v_fma_f64 v[44:45], v[53:54], v[57:58], -v[55:56]
	v_mul_f64_e32 v[84:85], s[6:7], v[64:65]
	v_add_f64_e64 v[134:135], v[50:51], -v[16:17]
	v_add_f64_e32 v[136:137], v[48:49], v[24:25]
	v_mul_f64_e32 v[158:159], s[18:19], v[64:65]
	v_mul_f64_e32 v[162:163], s[18:19], v[70:71]
	;; [unrolled: 1-line block ×4, first 2 shown]
	s_wait_alu 0xfffe
	v_mul_f64_e32 v[148:149], s[30:31], v[130:131]
	v_mul_f64_e32 v[172:173], s[26:27], v[130:131]
	v_add_f64_e64 v[56:57], v[42:43], -v[40:41]
	v_add_f64_e32 v[52:53], v[46:47], v[44:45]
	v_add_f64_e64 v[66:67], v[46:47], -v[44:45]
	v_mul_f64_e32 v[150:151], s[30:31], v[134:135]
	v_mul_f64_e32 v[174:175], s[26:27], v[134:135]
	s_wait_dscnt 0x0
	v_add_f64_e32 v[46:47], v[0:1], v[46:47]
	v_mul_f64_e32 v[74:75], s[4:5], v[56:57]
	v_mul_f64_e32 v[156:157], s[24:25], v[56:57]
	;; [unrolled: 1-line block ×6, first 2 shown]
	v_fma_f64 v[54:55], v[52:53], s[0:1], v[74:75]
	v_fma_f64 v[74:75], v[52:53], s[0:1], -v[74:75]
	s_delay_alu instid0(VALU_DEP_2) | instskip(SKIP_1) | instid1(VALU_DEP_3)
	v_add_f64_e32 v[58:59], v[0:1], v[54:55]
	v_add_f64_e32 v[54:55], v[2:3], v[32:33]
	;; [unrolled: 1-line block ×4, first 2 shown]
	s_delay_alu instid0(VALU_DEP_3) | instskip(SKIP_1) | instid1(VALU_DEP_3)
	v_fma_f64 v[60:61], v[54:55], s[2:3], v[84:85]
	v_fma_f64 v[84:85], v[54:55], s[2:3], -v[84:85]
	v_add_f64_e32 v[2:3], v[30:31], v[2:3]
	s_delay_alu instid0(VALU_DEP_3) | instskip(SKIP_1) | instid1(VALU_DEP_4)
	v_add_f64_e32 v[68:69], v[60:61], v[58:59]
	v_add_f64_e32 v[58:59], v[42:43], v[40:41]
	;; [unrolled: 1-line block ×5, first 2 shown]
	s_delay_alu instid0(VALU_DEP_4) | instskip(SKIP_1) | instid1(VALU_DEP_3)
	v_fma_f64 v[60:61], v[58:59], s[0:1], -v[86:87]
	v_fma_f64 v[84:85], v[58:59], s[0:1], v[86:87]
	v_add_f64_e32 v[2:3], v[50:51], v[2:3]
	s_delay_alu instid0(VALU_DEP_3) | instskip(SKIP_1) | instid1(VALU_DEP_4)
	v_add_f64_e32 v[62:63], v[28:29], v[60:61]
	v_add_f64_e32 v[60:61], v[38:39], v[10:11]
	v_add_f64_e32 v[84:85], v[28:29], v[84:85]
	v_add_f64_e32 v[38:39], v[38:39], v[42:43]
	v_add_f64_e32 v[2:3], v[36:37], v[2:3]
	s_delay_alu instid0(VALU_DEP_4) | instskip(SKIP_2) | instid1(VALU_DEP_4)
	v_fma_f64 v[72:73], v[60:61], s[2:3], -v[88:89]
	v_fma_f64 v[86:87], v[60:61], s[2:3], v[88:89]
	v_fma_f64 v[188:189], v[60:61], s[0:1], v[186:187]
	v_add_f64_e32 v[2:3], v[6:7], v[2:3]
	s_delay_alu instid0(VALU_DEP_4) | instskip(SKIP_4) | instid1(VALU_DEP_4)
	v_add_f64_e32 v[80:81], v[72:73], v[62:63]
	v_add_f64_e64 v[72:73], v[26:27], -v[12:13]
	v_add_f64_e32 v[62:63], v[30:31], v[8:9]
	v_add_f64_e32 v[84:85], v[86:87], v[84:85]
	;; [unrolled: 1-line block ×3, first 2 shown]
	v_mul_f64_e32 v[90:91], s[12:13], v[72:73]
	v_mul_f64_e32 v[164:165], s[4:5], v[72:73]
	s_delay_alu instid0(VALU_DEP_3) | instskip(NEXT) | instid1(VALU_DEP_3)
	v_add_f64_e32 v[2:3], v[20:21], v[2:3]
	v_fma_f64 v[82:83], v[62:63], s[10:11], v[90:91]
	v_fma_f64 v[86:87], v[62:63], s[10:11], -v[90:91]
	s_delay_alu instid0(VALU_DEP_3) | instskip(NEXT) | instid1(VALU_DEP_3)
	v_add_f64_e32 v[2:3], v[8:9], v[2:3]
	v_add_f64_e32 v[82:83], v[82:83], v[68:69]
	;; [unrolled: 1-line block ×3, first 2 shown]
	s_delay_alu instid0(VALU_DEP_4) | instskip(SKIP_2) | instid1(VALU_DEP_4)
	v_add_f64_e32 v[74:75], v[86:87], v[74:75]
	v_add_f64_e32 v[26:27], v[26:27], v[38:39]
	;; [unrolled: 1-line block ×3, first 2 shown]
	v_fma_f64 v[94:95], v[68:69], s[10:11], -v[92:93]
	v_fma_f64 v[86:87], v[68:69], s[10:11], v[92:93]
	v_mul_f64_e32 v[92:93], s[26:27], v[64:65]
	v_add_f64_e32 v[14:15], v[22:23], v[26:27]
	s_delay_alu instid0(VALU_DEP_4)
	v_add_f64_e32 v[80:81], v[94:95], v[80:81]
	v_mul_f64_e32 v[94:95], s[22:23], v[122:123]
	v_add_f64_e32 v[84:85], v[86:87], v[84:85]
	v_fma_f64 v[90:91], v[54:55], s[20:21], v[92:93]
	v_fma_f64 v[92:93], v[54:55], s[20:21], -v[92:93]
	v_add_f64_e32 v[14:15], v[48:49], v[14:15]
	v_fma_f64 v[96:97], v[124:125], s[14:15], v[94:95]
	v_fma_f64 v[86:87], v[124:125], s[14:15], -v[94:95]
	v_mul_f64_e32 v[94:95], s[12:13], v[66:67]
	s_delay_alu instid0(VALU_DEP_4) | instskip(NEXT) | instid1(VALU_DEP_4)
	v_add_f64_e32 v[14:15], v[34:35], v[14:15]
	v_add_f64_e32 v[82:83], v[96:97], v[82:83]
	v_mul_f64_e32 v[96:97], s[22:23], v[126:127]
	v_add_f64_e32 v[74:75], v[86:87], v[74:75]
	s_mov_b32 s23, 0x3fedeba7
	s_mov_b32 s22, s18
	s_delay_alu instid0(VALU_DEP_4) | instskip(NEXT) | instid1(VALU_DEP_3)
	v_add_f64_e32 v[4:5], v[4:5], v[14:15]
	v_fma_f64 v[98:99], v[128:129], s[14:15], -v[96:97]
	v_fma_f64 v[86:87], v[128:129], s[14:15], v[96:97]
	v_mul_f64_e32 v[96:97], s[26:27], v[70:71]
	s_delay_alu instid0(VALU_DEP_4) | instskip(NEXT) | instid1(VALU_DEP_4)
	v_add_f64_e32 v[4:5], v[24:25], v[4:5]
	v_add_f64_e32 v[80:81], v[98:99], v[80:81]
	v_mul_f64_e32 v[98:99], s[18:19], v[130:131]
	v_add_f64_e32 v[84:85], v[86:87], v[84:85]
	s_delay_alu instid0(VALU_DEP_4) | instskip(NEXT) | instid1(VALU_DEP_3)
	v_add_f64_e32 v[4:5], v[18:19], v[4:5]
	v_fma_f64 v[100:101], v[132:133], s[16:17], v[98:99]
	v_fma_f64 v[86:87], v[132:133], s[16:17], -v[98:99]
	v_fma_f64 v[98:99], v[60:61], s[20:21], -v[96:97]
	s_delay_alu instid0(VALU_DEP_4) | instskip(NEXT) | instid1(VALU_DEP_4)
	v_add_f64_e32 v[4:5], v[12:13], v[4:5]
	v_add_f64_e32 v[82:83], v[100:101], v[82:83]
	v_mul_f64_e32 v[100:101], s[18:19], v[134:135]
	v_add_f64_e32 v[74:75], v[86:87], v[74:75]
	s_delay_alu instid0(VALU_DEP_4) | instskip(SKIP_1) | instid1(VALU_DEP_4)
	v_add_f64_e32 v[6:7], v[10:11], v[4:5]
	v_add_f64_e32 v[4:5], v[44:45], v[2:3]
	v_fma_f64 v[102:103], v[136:137], s[16:17], -v[100:101]
	v_fma_f64 v[86:87], v[136:137], s[16:17], v[100:101]
	s_delay_alu instid0(VALU_DEP_4) | instskip(NEXT) | instid1(VALU_DEP_3)
	v_add_f64_e32 v[2:3], v[40:41], v[6:7]
	v_add_f64_e32 v[80:81], v[102:103], v[80:81]
	v_mul_f64_e32 v[102:103], s[26:27], v[138:139]
	s_delay_alu instid0(VALU_DEP_4) | instskip(SKIP_1) | instid1(VALU_DEP_3)
	v_add_f64_e32 v[84:85], v[86:87], v[84:85]
	v_mul_f64_e32 v[138:139], s[4:5], v[138:139]
	v_fma_f64 v[104:105], v[140:141], s[20:21], v[102:103]
	v_fma_f64 v[86:87], v[140:141], s[20:21], -v[102:103]
	s_delay_alu instid0(VALU_DEP_2) | instskip(SKIP_1) | instid1(VALU_DEP_3)
	v_add_f64_e32 v[82:83], v[104:105], v[82:83]
	v_mul_f64_e32 v[104:105], s[26:27], v[142:143]
	v_add_f64_e32 v[86:87], v[86:87], v[74:75]
	v_mul_f64_e32 v[74:75], s[12:13], v[56:57]
	v_mul_f64_e32 v[142:143], s[4:5], v[142:143]
	s_delay_alu instid0(VALU_DEP_4) | instskip(SKIP_1) | instid1(VALU_DEP_2)
	v_fma_f64 v[88:89], v[144:145], s[20:21], v[104:105]
	v_fma_f64 v[106:107], v[144:145], s[20:21], -v[104:105]
	v_add_f64_e32 v[84:85], v[88:89], v[84:85]
	v_fma_f64 v[88:89], v[52:53], s[10:11], v[74:75]
	v_fma_f64 v[74:75], v[52:53], s[10:11], -v[74:75]
	s_delay_alu instid0(VALU_DEP_4) | instskip(NEXT) | instid1(VALU_DEP_3)
	v_add_f64_e32 v[80:81], v[106:107], v[80:81]
	v_add_f64_e32 v[88:89], v[0:1], v[88:89]
	s_delay_alu instid0(VALU_DEP_3) | instskip(NEXT) | instid1(VALU_DEP_2)
	v_add_f64_e32 v[74:75], v[0:1], v[74:75]
	v_add_f64_e32 v[88:89], v[90:91], v[88:89]
	v_fma_f64 v[90:91], v[58:59], s[10:11], -v[94:95]
	s_delay_alu instid0(VALU_DEP_3) | instskip(SKIP_4) | instid1(VALU_DEP_4)
	v_add_f64_e32 v[74:75], v[92:93], v[74:75]
	v_fma_f64 v[92:93], v[58:59], s[10:11], v[94:95]
	v_fma_f64 v[94:95], v[60:61], s[20:21], v[96:97]
	;; [unrolled: 1-line block ×3, first 2 shown]
	v_add_f64_e32 v[90:91], v[28:29], v[90:91]
	v_add_f64_e32 v[92:93], v[28:29], v[92:93]
	s_delay_alu instid0(VALU_DEP_2) | instskip(SKIP_1) | instid1(VALU_DEP_3)
	v_add_f64_e32 v[90:91], v[98:99], v[90:91]
	v_mul_f64_e32 v[98:99], s[24:25], v[72:73]
	v_add_f64_e32 v[92:93], v[94:95], v[92:93]
	s_delay_alu instid0(VALU_DEP_2) | instskip(SKIP_1) | instid1(VALU_DEP_2)
	v_fma_f64 v[100:101], v[62:63], s[14:15], v[98:99]
	v_fma_f64 v[94:95], v[62:63], s[14:15], -v[98:99]
	v_add_f64_e32 v[88:89], v[100:101], v[88:89]
	v_mul_f64_e32 v[100:101], s[24:25], v[120:121]
	s_delay_alu instid0(VALU_DEP_3) | instskip(NEXT) | instid1(VALU_DEP_2)
	v_add_f64_e32 v[74:75], v[94:95], v[74:75]
	v_fma_f64 v[102:103], v[68:69], s[14:15], -v[100:101]
	v_fma_f64 v[94:95], v[68:69], s[14:15], v[100:101]
	s_delay_alu instid0(VALU_DEP_2) | instskip(SKIP_1) | instid1(VALU_DEP_3)
	v_add_f64_e32 v[90:91], v[102:103], v[90:91]
	v_mul_f64_e32 v[102:103], s[30:31], v[122:123]
	v_add_f64_e32 v[92:93], v[94:95], v[92:93]
	s_delay_alu instid0(VALU_DEP_2) | instskip(SKIP_2) | instid1(VALU_DEP_3)
	v_fma_f64 v[104:105], v[124:125], s[0:1], v[102:103]
	v_fma_f64 v[94:95], v[124:125], s[0:1], -v[102:103]
	v_fma_f64 v[102:103], v[54:55], s[16:17], -v[158:159]
	v_add_f64_e32 v[88:89], v[104:105], v[88:89]
	v_mul_f64_e32 v[104:105], s[30:31], v[126:127]
	s_delay_alu instid0(VALU_DEP_4) | instskip(NEXT) | instid1(VALU_DEP_2)
	v_add_f64_e32 v[74:75], v[94:95], v[74:75]
	v_fma_f64 v[106:107], v[128:129], s[0:1], -v[104:105]
	v_fma_f64 v[94:95], v[128:129], s[0:1], v[104:105]
	v_fma_f64 v[104:105], v[60:61], s[16:17], v[162:163]
	s_delay_alu instid0(VALU_DEP_3) | instskip(SKIP_1) | instid1(VALU_DEP_4)
	v_add_f64_e32 v[90:91], v[106:107], v[90:91]
	v_mul_f64_e32 v[106:107], s[6:7], v[130:131]
	v_add_f64_e32 v[92:93], v[94:95], v[92:93]
	s_delay_alu instid0(VALU_DEP_2) | instskip(SKIP_2) | instid1(VALU_DEP_3)
	v_fma_f64 v[108:109], v[132:133], s[2:3], v[106:107]
	v_fma_f64 v[94:95], v[132:133], s[2:3], -v[106:107]
	v_fma_f64 v[106:107], v[54:55], s[0:1], -v[182:183]
	v_add_f64_e32 v[88:89], v[108:109], v[88:89]
	v_mul_f64_e32 v[108:109], s[6:7], v[134:135]
	s_delay_alu instid0(VALU_DEP_4) | instskip(NEXT) | instid1(VALU_DEP_2)
	v_add_f64_e32 v[74:75], v[94:95], v[74:75]
	v_fma_f64 v[94:95], v[136:137], s[2:3], v[108:109]
	v_fma_f64 v[110:111], v[136:137], s[2:3], -v[108:109]
	v_mul_f64_e32 v[108:109], s[34:35], v[64:65]
	s_delay_alu instid0(VALU_DEP_3) | instskip(SKIP_1) | instid1(VALU_DEP_4)
	v_add_f64_e32 v[92:93], v[94:95], v[92:93]
	v_fma_f64 v[94:95], v[140:141], s[16:17], -v[112:113]
	v_add_f64_e32 v[110:111], v[110:111], v[90:91]
	v_fma_f64 v[90:91], v[140:141], s[16:17], v[112:113]
	v_fma_f64 v[98:99], v[54:55], s[10:11], v[108:109]
	v_mul_f64_e32 v[112:113], s[34:35], v[70:71]
	v_fma_f64 v[108:109], v[54:55], s[10:11], -v[108:109]
	v_mul_f64_e32 v[70:71], s[24:25], v[70:71]
	v_add_f64_e32 v[92:93], v[96:97], v[92:93]
	v_add_f64_e32 v[94:95], v[94:95], v[74:75]
	v_mul_f64_e32 v[74:75], s[18:19], v[56:57]
	v_add_f64_e32 v[90:91], v[90:91], v[88:89]
	v_fma_f64 v[88:89], v[144:145], s[16:17], -v[114:115]
	v_fma_f64 v[100:101], v[60:61], s[10:11], -v[112:113]
	v_mul_f64_e32 v[114:115], s[6:7], v[72:73]
	v_fma_f64 v[12:13], v[60:61], s[14:15], -v[70:71]
	v_fma_f64 v[96:97], v[52:53], s[16:17], v[74:75]
	v_fma_f64 v[74:75], v[52:53], s[16:17], -v[74:75]
	v_add_f64_e32 v[88:89], v[88:89], v[110:111]
	v_mul_f64_e32 v[110:111], s[18:19], v[66:67]
	s_delay_alu instid0(VALU_DEP_4) | instskip(NEXT) | instid1(VALU_DEP_4)
	v_add_f64_e32 v[96:97], v[0:1], v[96:97]
	v_add_f64_e32 v[74:75], v[0:1], v[74:75]
	s_delay_alu instid0(VALU_DEP_2) | instskip(NEXT) | instid1(VALU_DEP_4)
	v_add_f64_e32 v[96:97], v[98:99], v[96:97]
	v_fma_f64 v[98:99], v[58:59], s[16:17], -v[110:111]
	s_delay_alu instid0(VALU_DEP_3) | instskip(SKIP_4) | instid1(VALU_DEP_4)
	v_add_f64_e32 v[74:75], v[108:109], v[74:75]
	v_fma_f64 v[108:109], v[58:59], s[16:17], v[110:111]
	v_fma_f64 v[110:111], v[60:61], s[10:11], v[112:113]
	;; [unrolled: 1-line block ×3, first 2 shown]
	v_add_f64_e32 v[98:99], v[28:29], v[98:99]
	v_add_f64_e32 v[108:109], v[28:29], v[108:109]
	s_delay_alu instid0(VALU_DEP_2) | instskip(SKIP_1) | instid1(VALU_DEP_3)
	v_add_f64_e32 v[98:99], v[100:101], v[98:99]
	v_fma_f64 v[100:101], v[62:63], s[2:3], v[114:115]
	v_add_f64_e32 v[108:109], v[110:111], v[108:109]
	v_fma_f64 v[110:111], v[62:63], s[2:3], -v[114:115]
	v_fma_f64 v[114:115], v[60:61], s[0:1], -v[186:187]
	s_delay_alu instid0(VALU_DEP_4) | instskip(SKIP_1) | instid1(VALU_DEP_4)
	v_add_f64_e32 v[96:97], v[100:101], v[96:97]
	v_fma_f64 v[100:101], v[68:69], s[2:3], -v[116:117]
	v_add_f64_e32 v[74:75], v[110:111], v[74:75]
	v_fma_f64 v[110:111], v[68:69], s[2:3], v[116:117]
	v_fma_f64 v[116:117], v[144:145], s[10:11], -v[204:205]
	s_delay_alu instid0(VALU_DEP_4) | instskip(SKIP_1) | instid1(VALU_DEP_4)
	v_add_f64_e32 v[98:99], v[100:101], v[98:99]
	v_fma_f64 v[100:101], v[124:125], s[20:21], v[118:119]
	v_add_f64_e32 v[108:109], v[110:111], v[108:109]
	v_fma_f64 v[110:111], v[124:125], s[20:21], -v[118:119]
	v_fma_f64 v[118:119], v[60:61], s[16:17], -v[162:163]
	s_delay_alu instid0(VALU_DEP_4) | instskip(SKIP_1) | instid1(VALU_DEP_4)
	v_add_f64_e32 v[96:97], v[100:101], v[96:97]
	v_fma_f64 v[100:101], v[128:129], s[20:21], -v[146:147]
	v_add_f64_e32 v[74:75], v[110:111], v[74:75]
	v_fma_f64 v[110:111], v[128:129], s[20:21], v[146:147]
	v_fma_f64 v[146:147], v[144:145], s[2:3], -v[178:179]
	s_delay_alu instid0(VALU_DEP_4) | instskip(SKIP_1) | instid1(VALU_DEP_4)
	v_add_f64_e32 v[98:99], v[100:101], v[98:99]
	v_fma_f64 v[100:101], v[132:133], s[0:1], v[148:149]
	v_add_f64_e32 v[108:109], v[110:111], v[108:109]
	v_fma_f64 v[110:111], v[132:133], s[0:1], -v[148:149]
	v_fma_f64 v[148:149], v[60:61], s[14:15], v[70:71]
	s_delay_alu instid0(VALU_DEP_4) | instskip(SKIP_1) | instid1(VALU_DEP_4)
	v_add_f64_e32 v[96:97], v[100:101], v[96:97]
	v_fma_f64 v[100:101], v[136:137], s[0:1], -v[150:151]
	v_add_f64_e32 v[74:75], v[110:111], v[74:75]
	v_fma_f64 v[110:111], v[136:137], s[0:1], v[150:151]
	s_delay_alu instid0(VALU_DEP_3) | instskip(SKIP_1) | instid1(VALU_DEP_3)
	v_add_f64_e32 v[100:101], v[100:101], v[98:99]
	v_fma_f64 v[98:99], v[140:141], s[14:15], v[152:153]
	v_add_f64_e32 v[108:109], v[110:111], v[108:109]
	v_fma_f64 v[110:111], v[140:141], s[14:15], -v[152:153]
	s_delay_alu instid0(VALU_DEP_3) | instskip(SKIP_1) | instid1(VALU_DEP_3)
	v_add_f64_e32 v[98:99], v[98:99], v[96:97]
	v_fma_f64 v[96:97], v[144:145], s[14:15], -v[154:155]
	v_add_f64_e32 v[110:111], v[110:111], v[74:75]
	v_fma_f64 v[74:75], v[52:53], s[20:21], v[180:181]
	v_add_f64_e32 v[108:109], v[112:113], v[108:109]
	v_fma_f64 v[112:113], v[54:55], s[0:1], v[182:183]
	v_add_f64_e32 v[96:97], v[96:97], v[100:101]
	v_fma_f64 v[100:101], v[52:53], s[14:15], -v[156:157]
	v_add_f64_e32 v[74:75], v[0:1], v[74:75]
	s_delay_alu instid0(VALU_DEP_2) | instskip(NEXT) | instid1(VALU_DEP_2)
	v_add_f64_e32 v[100:101], v[0:1], v[100:101]
	v_add_f64_e32 v[74:75], v[112:113], v[74:75]
	v_fma_f64 v[112:113], v[58:59], s[20:21], -v[184:185]
	s_delay_alu instid0(VALU_DEP_3) | instskip(SKIP_1) | instid1(VALU_DEP_3)
	v_add_f64_e32 v[100:101], v[102:103], v[100:101]
	v_fma_f64 v[102:103], v[58:59], s[14:15], v[160:161]
	v_add_f64_e32 v[112:113], v[28:29], v[112:113]
	s_delay_alu instid0(VALU_DEP_2) | instskip(NEXT) | instid1(VALU_DEP_2)
	v_add_f64_e32 v[102:103], v[28:29], v[102:103]
	v_add_f64_e32 v[112:113], v[114:115], v[112:113]
	s_delay_alu instid0(VALU_DEP_2) | instskip(SKIP_1) | instid1(VALU_DEP_1)
	v_add_f64_e32 v[102:103], v[104:105], v[102:103]
	v_fma_f64 v[104:105], v[62:63], s[0:1], -v[164:165]
	v_add_f64_e32 v[100:101], v[104:105], v[100:101]
	v_fma_f64 v[104:105], v[68:69], s[0:1], v[166:167]
	s_delay_alu instid0(VALU_DEP_1) | instskip(SKIP_1) | instid1(VALU_DEP_1)
	v_add_f64_e32 v[102:103], v[104:105], v[102:103]
	v_fma_f64 v[104:105], v[124:125], s[10:11], -v[168:169]
	v_add_f64_e32 v[100:101], v[104:105], v[100:101]
	v_fma_f64 v[104:105], v[128:129], s[10:11], v[170:171]
	s_delay_alu instid0(VALU_DEP_1) | instskip(SKIP_1) | instid1(VALU_DEP_1)
	;; [unrolled: 5-line block ×4, first 2 shown]
	v_add_f64_e32 v[100:101], v[100:101], v[104:105]
	v_fma_f64 v[104:105], v[52:53], s[20:21], -v[180:181]
	v_add_f64_e32 v[104:105], v[0:1], v[104:105]
	s_delay_alu instid0(VALU_DEP_1) | instskip(SKIP_1) | instid1(VALU_DEP_1)
	v_add_f64_e32 v[104:105], v[106:107], v[104:105]
	v_fma_f64 v[106:107], v[58:59], s[20:21], v[184:185]
	v_add_f64_e32 v[106:107], v[28:29], v[106:107]
	s_delay_alu instid0(VALU_DEP_1) | instskip(SKIP_3) | instid1(VALU_DEP_2)
	v_add_f64_e32 v[106:107], v[188:189], v[106:107]
	s_wait_alu 0xfffe
	v_mul_f64_e32 v[188:189], s[22:23], v[72:73]
	v_mul_f64_e32 v[72:73], s[28:29], v[72:73]
	v_fma_f64 v[190:191], v[62:63], s[16:17], -v[188:189]
	v_fma_f64 v[114:115], v[62:63], s[16:17], v[188:189]
	s_delay_alu instid0(VALU_DEP_2) | instskip(SKIP_1) | instid1(VALU_DEP_3)
	v_add_f64_e32 v[104:105], v[190:191], v[104:105]
	v_mul_f64_e32 v[190:191], s[22:23], v[120:121]
	v_add_f64_e32 v[74:75], v[114:115], v[74:75]
	v_mul_f64_e32 v[120:121], s[28:29], v[120:121]
	s_delay_alu instid0(VALU_DEP_3) | instskip(SKIP_1) | instid1(VALU_DEP_3)
	v_fma_f64 v[192:193], v[68:69], s[16:17], v[190:191]
	v_fma_f64 v[114:115], v[68:69], s[16:17], -v[190:191]
	v_fma_f64 v[14:15], v[68:69], s[20:21], -v[120:121]
	s_delay_alu instid0(VALU_DEP_3) | instskip(SKIP_1) | instid1(VALU_DEP_4)
	v_add_f64_e32 v[106:107], v[192:193], v[106:107]
	v_mul_f64_e32 v[192:193], s[6:7], v[122:123]
	v_add_f64_e32 v[112:113], v[114:115], v[112:113]
	v_mul_f64_e32 v[122:123], s[18:19], v[122:123]
	s_delay_alu instid0(VALU_DEP_3) | instskip(SKIP_1) | instid1(VALU_DEP_2)
	v_fma_f64 v[194:195], v[124:125], s[2:3], -v[192:193]
	v_fma_f64 v[114:115], v[124:125], s[2:3], v[192:193]
	v_add_f64_e32 v[104:105], v[194:195], v[104:105]
	v_mul_f64_e32 v[194:195], s[6:7], v[126:127]
	s_delay_alu instid0(VALU_DEP_3) | instskip(SKIP_4) | instid1(VALU_DEP_4)
	v_add_f64_e32 v[74:75], v[114:115], v[74:75]
	s_mov_b32 s7, 0xbfddbe06
	v_mul_f64_e32 v[126:127], s[18:19], v[126:127]
	s_wait_alu 0xfffe
	v_mul_f64_e32 v[56:57], s[6:7], v[56:57]
	v_fma_f64 v[196:197], v[128:129], s[2:3], v[194:195]
	v_fma_f64 v[114:115], v[128:129], s[2:3], -v[194:195]
	s_delay_alu instid0(VALU_DEP_3) | instskip(NEXT) | instid1(VALU_DEP_3)
	v_fma_f64 v[6:7], v[52:53], s[2:3], v[56:57]
	v_add_f64_e32 v[106:107], v[196:197], v[106:107]
	v_mul_f64_e32 v[196:197], s[24:25], v[130:131]
	s_delay_alu instid0(VALU_DEP_4) | instskip(SKIP_1) | instid1(VALU_DEP_3)
	v_add_f64_e32 v[112:113], v[114:115], v[112:113]
	v_mul_f64_e32 v[130:131], s[12:13], v[130:131]
	v_fma_f64 v[198:199], v[132:133], s[14:15], -v[196:197]
	v_fma_f64 v[114:115], v[132:133], s[14:15], v[196:197]
	s_delay_alu instid0(VALU_DEP_2) | instskip(SKIP_1) | instid1(VALU_DEP_3)
	v_add_f64_e32 v[104:105], v[198:199], v[104:105]
	v_mul_f64_e32 v[198:199], s[24:25], v[134:135]
	v_add_f64_e32 v[74:75], v[114:115], v[74:75]
	v_mul_f64_e32 v[134:135], s[12:13], v[134:135]
	s_delay_alu instid0(VALU_DEP_3) | instskip(SKIP_1) | instid1(VALU_DEP_2)
	v_fma_f64 v[114:115], v[136:137], s[14:15], -v[198:199]
	v_fma_f64 v[200:201], v[136:137], s[14:15], v[198:199]
	v_add_f64_e32 v[112:113], v[114:115], v[112:113]
	v_fma_f64 v[114:115], v[140:141], s[10:11], v[202:203]
	s_delay_alu instid0(VALU_DEP_3) | instskip(SKIP_1) | instid1(VALU_DEP_4)
	v_add_f64_e32 v[200:201], v[200:201], v[106:107]
	v_fma_f64 v[106:107], v[140:141], s[10:11], -v[202:203]
	v_add_f64_e32 v[112:113], v[116:117], v[112:113]
	s_delay_alu instid0(VALU_DEP_4) | instskip(SKIP_4) | instid1(VALU_DEP_4)
	v_add_f64_e32 v[114:115], v[114:115], v[74:75]
	v_fma_f64 v[74:75], v[52:53], s[14:15], v[156:157]
	v_fma_f64 v[116:117], v[54:55], s[16:17], v[158:159]
	v_add_f64_e32 v[106:107], v[106:107], v[104:105]
	v_fma_f64 v[104:105], v[144:145], s[10:11], v[204:205]
	v_add_f64_e32 v[74:75], v[0:1], v[74:75]
	s_delay_alu instid0(VALU_DEP_2) | instskip(NEXT) | instid1(VALU_DEP_2)
	v_add_f64_e32 v[104:105], v[104:105], v[200:201]
	v_add_f64_e32 v[74:75], v[116:117], v[74:75]
	v_fma_f64 v[116:117], v[58:59], s[14:15], -v[160:161]
	s_delay_alu instid0(VALU_DEP_1) | instskip(NEXT) | instid1(VALU_DEP_1)
	v_add_f64_e32 v[116:117], v[28:29], v[116:117]
	v_add_f64_e32 v[116:117], v[118:119], v[116:117]
	v_fma_f64 v[118:119], v[62:63], s[0:1], v[164:165]
	s_delay_alu instid0(VALU_DEP_1) | instskip(SKIP_1) | instid1(VALU_DEP_1)
	v_add_f64_e32 v[74:75], v[118:119], v[74:75]
	v_fma_f64 v[118:119], v[68:69], s[0:1], -v[166:167]
	v_add_f64_e32 v[116:117], v[118:119], v[116:117]
	v_fma_f64 v[118:119], v[124:125], s[10:11], v[168:169]
	s_delay_alu instid0(VALU_DEP_1) | instskip(SKIP_1) | instid1(VALU_DEP_1)
	v_add_f64_e32 v[74:75], v[118:119], v[74:75]
	v_fma_f64 v[118:119], v[128:129], s[10:11], -v[170:171]
	;; [unrolled: 5-line block ×3, first 2 shown]
	v_add_f64_e32 v[116:117], v[118:119], v[116:117]
	v_fma_f64 v[118:119], v[140:141], s[2:3], v[176:177]
	s_delay_alu instid0(VALU_DEP_2) | instskip(NEXT) | instid1(VALU_DEP_2)
	v_add_f64_e32 v[116:117], v[146:147], v[116:117]
	v_add_f64_e32 v[118:119], v[118:119], v[74:75]
	v_mul_f64_e32 v[74:75], s[24:25], v[64:65]
	v_fma_f64 v[64:65], v[52:53], s[2:3], -v[56:57]
	s_delay_alu instid0(VALU_DEP_2) | instskip(NEXT) | instid1(VALU_DEP_2)
	v_fma_f64 v[146:147], v[54:55], s[14:15], -v[74:75]
	v_add_f64_e32 v[64:65], v[0:1], v[64:65]
	v_fma_f64 v[10:11], v[54:55], s[14:15], v[74:75]
	v_add_f64_e32 v[0:1], v[0:1], v[6:7]
	s_delay_alu instid0(VALU_DEP_3) | instskip(SKIP_1) | instid1(VALU_DEP_3)
	v_add_f64_e32 v[64:65], v[146:147], v[64:65]
	v_mul_f64_e32 v[146:147], s[6:7], v[66:67]
	v_add_f64_e32 v[0:1], v[10:11], v[0:1]
	v_fma_f64 v[10:11], v[124:125], s[16:17], v[122:123]
	s_delay_alu instid0(VALU_DEP_3) | instskip(SKIP_1) | instid1(VALU_DEP_2)
	v_fma_f64 v[66:67], v[58:59], s[2:3], v[146:147]
	v_fma_f64 v[8:9], v[58:59], s[2:3], -v[146:147]
	v_add_f64_e32 v[66:67], v[28:29], v[66:67]
	s_delay_alu instid0(VALU_DEP_2) | instskip(SKIP_1) | instid1(VALU_DEP_3)
	v_add_f64_e32 v[6:7], v[28:29], v[8:9]
	v_fma_f64 v[8:9], v[62:63], s[20:21], v[72:73]
	v_add_f64_e32 v[66:67], v[148:149], v[66:67]
	v_fma_f64 v[148:149], v[62:63], s[20:21], -v[72:73]
	s_delay_alu instid0(VALU_DEP_4)
	v_add_f64_e32 v[6:7], v[12:13], v[6:7]
	v_fma_f64 v[12:13], v[128:129], s[16:17], -v[126:127]
	v_add_f64_e32 v[0:1], v[8:9], v[0:1]
	v_fma_f64 v[8:9], v[132:133], s[10:11], v[130:131]
	v_add_f64_e32 v[64:65], v[148:149], v[64:65]
	v_fma_f64 v[148:149], v[68:69], s[20:21], v[120:121]
	v_add_f64_e32 v[6:7], v[14:15], v[6:7]
	v_fma_f64 v[14:15], v[136:137], s[10:11], -v[134:135]
	v_add_f64_e32 v[0:1], v[10:11], v[0:1]
	v_fma_f64 v[10:11], v[140:141], s[0:1], v[138:139]
	v_add_f64_e32 v[66:67], v[148:149], v[66:67]
	v_fma_f64 v[148:149], v[124:125], s[16:17], -v[122:123]
	v_add_f64_e32 v[6:7], v[12:13], v[6:7]
	v_fma_f64 v[12:13], v[144:145], s[0:1], -v[142:143]
	v_add_f64_e32 v[0:1], v[8:9], v[0:1]
	s_delay_alu instid0(VALU_DEP_4) | instskip(SKIP_2) | instid1(VALU_DEP_4)
	v_add_f64_e32 v[64:65], v[148:149], v[64:65]
	v_fma_f64 v[148:149], v[128:129], s[16:17], v[126:127]
	v_add_f64_e32 v[6:7], v[14:15], v[6:7]
	v_add_f64_e32 v[8:9], v[10:11], v[0:1]
	v_lshlrev_b64_e32 v[0:1], 4, v[78:79]
	v_add_co_u32 v10, vcc_lo, s8, v76
	s_wait_alu 0xfffd
	v_add_co_ci_u32_e32 v11, vcc_lo, s9, v77, vcc_lo
	s_delay_alu instid0(VALU_DEP_2) | instskip(SKIP_1) | instid1(VALU_DEP_2)
	v_add_co_u32 v0, vcc_lo, v10, v0
	s_wait_alu 0xfffd
	v_add_co_ci_u32_e32 v1, vcc_lo, v11, v1, vcc_lo
	v_add_f64_e32 v[66:67], v[148:149], v[66:67]
	v_fma_f64 v[148:149], v[132:133], s[10:11], -v[130:131]
	v_add_f64_e32 v[6:7], v[12:13], v[6:7]
	s_delay_alu instid0(VALU_DEP_2) | instskip(SKIP_1) | instid1(VALU_DEP_1)
	v_add_f64_e32 v[64:65], v[148:149], v[64:65]
	v_fma_f64 v[148:149], v[136:137], s[10:11], v[134:135]
	v_add_f64_e32 v[148:149], v[148:149], v[66:67]
	v_fma_f64 v[66:67], v[140:141], s[0:1], -v[138:139]
	s_delay_alu instid0(VALU_DEP_1) | instskip(SKIP_1) | instid1(VALU_DEP_1)
	v_add_f64_e32 v[66:67], v[66:67], v[64:65]
	v_fma_f64 v[64:65], v[144:145], s[0:1], v[142:143]
	v_add_f64_e32 v[64:65], v[64:65], v[148:149]
	s_clause 0xc
	global_store_b128 v[0:1], v[100:103], off offset:832
	global_store_b128 v[0:1], v[104:107], off offset:1248
	;; [unrolled: 1-line block ×11, first 2 shown]
	global_store_b128 v[0:1], v[2:5], off
	global_store_b128 v[0:1], v[6:9], off offset:4992
.LBB0_21:
	s_nop 0
	s_sendmsg sendmsg(MSG_DEALLOC_VGPRS)
	s_endpgm
	.section	.rodata,"a",@progbits
	.p2align	6, 0x0
	.amdhsa_kernel fft_rtc_back_len338_factors_13_2_13_wgs_52_tpt_26_halfLds_dp_ip_CI_unitstride_sbrr_dirReg
		.amdhsa_group_segment_fixed_size 0
		.amdhsa_private_segment_fixed_size 0
		.amdhsa_kernarg_size 88
		.amdhsa_user_sgpr_count 2
		.amdhsa_user_sgpr_dispatch_ptr 0
		.amdhsa_user_sgpr_queue_ptr 0
		.amdhsa_user_sgpr_kernarg_segment_ptr 1
		.amdhsa_user_sgpr_dispatch_id 0
		.amdhsa_user_sgpr_private_segment_size 0
		.amdhsa_wavefront_size32 1
		.amdhsa_uses_dynamic_stack 0
		.amdhsa_enable_private_segment 0
		.amdhsa_system_sgpr_workgroup_id_x 1
		.amdhsa_system_sgpr_workgroup_id_y 0
		.amdhsa_system_sgpr_workgroup_id_z 0
		.amdhsa_system_sgpr_workgroup_info 0
		.amdhsa_system_vgpr_workitem_id 0
		.amdhsa_next_free_vgpr 206
		.amdhsa_next_free_sgpr 44
		.amdhsa_reserve_vcc 1
		.amdhsa_float_round_mode_32 0
		.amdhsa_float_round_mode_16_64 0
		.amdhsa_float_denorm_mode_32 3
		.amdhsa_float_denorm_mode_16_64 3
		.amdhsa_fp16_overflow 0
		.amdhsa_workgroup_processor_mode 1
		.amdhsa_memory_ordered 1
		.amdhsa_forward_progress 0
		.amdhsa_round_robin_scheduling 0
		.amdhsa_exception_fp_ieee_invalid_op 0
		.amdhsa_exception_fp_denorm_src 0
		.amdhsa_exception_fp_ieee_div_zero 0
		.amdhsa_exception_fp_ieee_overflow 0
		.amdhsa_exception_fp_ieee_underflow 0
		.amdhsa_exception_fp_ieee_inexact 0
		.amdhsa_exception_int_div_zero 0
	.end_amdhsa_kernel
	.text
.Lfunc_end0:
	.size	fft_rtc_back_len338_factors_13_2_13_wgs_52_tpt_26_halfLds_dp_ip_CI_unitstride_sbrr_dirReg, .Lfunc_end0-fft_rtc_back_len338_factors_13_2_13_wgs_52_tpt_26_halfLds_dp_ip_CI_unitstride_sbrr_dirReg
                                        ; -- End function
	.section	.AMDGPU.csdata,"",@progbits
; Kernel info:
; codeLenInByte = 9812
; NumSgprs: 46
; NumVgprs: 206
; ScratchSize: 0
; MemoryBound: 1
; FloatMode: 240
; IeeeMode: 1
; LDSByteSize: 0 bytes/workgroup (compile time only)
; SGPRBlocks: 5
; VGPRBlocks: 25
; NumSGPRsForWavesPerEU: 46
; NumVGPRsForWavesPerEU: 206
; Occupancy: 7
; WaveLimiterHint : 1
; COMPUTE_PGM_RSRC2:SCRATCH_EN: 0
; COMPUTE_PGM_RSRC2:USER_SGPR: 2
; COMPUTE_PGM_RSRC2:TRAP_HANDLER: 0
; COMPUTE_PGM_RSRC2:TGID_X_EN: 1
; COMPUTE_PGM_RSRC2:TGID_Y_EN: 0
; COMPUTE_PGM_RSRC2:TGID_Z_EN: 0
; COMPUTE_PGM_RSRC2:TIDIG_COMP_CNT: 0
	.text
	.p2alignl 7, 3214868480
	.fill 96, 4, 3214868480
	.type	__hip_cuid_4c834d49b6ad8688,@object ; @__hip_cuid_4c834d49b6ad8688
	.section	.bss,"aw",@nobits
	.globl	__hip_cuid_4c834d49b6ad8688
__hip_cuid_4c834d49b6ad8688:
	.byte	0                               ; 0x0
	.size	__hip_cuid_4c834d49b6ad8688, 1

	.ident	"AMD clang version 19.0.0git (https://github.com/RadeonOpenCompute/llvm-project roc-6.4.0 25133 c7fe45cf4b819c5991fe208aaa96edf142730f1d)"
	.section	".note.GNU-stack","",@progbits
	.addrsig
	.addrsig_sym __hip_cuid_4c834d49b6ad8688
	.amdgpu_metadata
---
amdhsa.kernels:
  - .args:
      - .actual_access:  read_only
        .address_space:  global
        .offset:         0
        .size:           8
        .value_kind:     global_buffer
      - .offset:         8
        .size:           8
        .value_kind:     by_value
      - .actual_access:  read_only
        .address_space:  global
        .offset:         16
        .size:           8
        .value_kind:     global_buffer
      - .actual_access:  read_only
        .address_space:  global
        .offset:         24
        .size:           8
        .value_kind:     global_buffer
      - .offset:         32
        .size:           8
        .value_kind:     by_value
      - .actual_access:  read_only
        .address_space:  global
        .offset:         40
        .size:           8
        .value_kind:     global_buffer
      - .actual_access:  read_only
        .address_space:  global
        .offset:         48
        .size:           8
        .value_kind:     global_buffer
      - .offset:         56
        .size:           4
        .value_kind:     by_value
      - .actual_access:  read_only
        .address_space:  global
        .offset:         64
        .size:           8
        .value_kind:     global_buffer
      - .actual_access:  read_only
        .address_space:  global
        .offset:         72
        .size:           8
        .value_kind:     global_buffer
      - .address_space:  global
        .offset:         80
        .size:           8
        .value_kind:     global_buffer
    .group_segment_fixed_size: 0
    .kernarg_segment_align: 8
    .kernarg_segment_size: 88
    .language:       OpenCL C
    .language_version:
      - 2
      - 0
    .max_flat_workgroup_size: 52
    .name:           fft_rtc_back_len338_factors_13_2_13_wgs_52_tpt_26_halfLds_dp_ip_CI_unitstride_sbrr_dirReg
    .private_segment_fixed_size: 0
    .sgpr_count:     46
    .sgpr_spill_count: 0
    .symbol:         fft_rtc_back_len338_factors_13_2_13_wgs_52_tpt_26_halfLds_dp_ip_CI_unitstride_sbrr_dirReg.kd
    .uniform_work_group_size: 1
    .uses_dynamic_stack: false
    .vgpr_count:     206
    .vgpr_spill_count: 0
    .wavefront_size: 32
    .workgroup_processor_mode: 1
amdhsa.target:   amdgcn-amd-amdhsa--gfx1201
amdhsa.version:
  - 1
  - 2
...

	.end_amdgpu_metadata
